;; amdgpu-corpus repo=ROCm/rocFFT kind=compiled arch=gfx1030 opt=O3
	.text
	.amdgcn_target "amdgcn-amd-amdhsa--gfx1030"
	.amdhsa_code_object_version 6
	.protected	fft_rtc_back_len2430_factors_10_3_3_3_3_3_wgs_81_tpt_81_halfLds_half_ip_CI_sbrr_dirReg ; -- Begin function fft_rtc_back_len2430_factors_10_3_3_3_3_3_wgs_81_tpt_81_halfLds_half_ip_CI_sbrr_dirReg
	.globl	fft_rtc_back_len2430_factors_10_3_3_3_3_3_wgs_81_tpt_81_halfLds_half_ip_CI_sbrr_dirReg
	.p2align	8
	.type	fft_rtc_back_len2430_factors_10_3_3_3_3_3_wgs_81_tpt_81_halfLds_half_ip_CI_sbrr_dirReg,@function
fft_rtc_back_len2430_factors_10_3_3_3_3_3_wgs_81_tpt_81_halfLds_half_ip_CI_sbrr_dirReg: ; @fft_rtc_back_len2430_factors_10_3_3_3_3_3_wgs_81_tpt_81_halfLds_half_ip_CI_sbrr_dirReg
; %bb.0:
	s_clause 0x2
	s_load_dwordx2 s[14:15], s[4:5], 0x18
	s_load_dwordx4 s[8:11], s[4:5], 0x0
	s_load_dwordx2 s[12:13], s[4:5], 0x50
	v_mul_u32_u24_e32 v1, 0x32a, v0
	v_mov_b32_e32 v3, 0
	v_add_nc_u32_sdwa v5, s6, v1 dst_sel:DWORD dst_unused:UNUSED_PAD src0_sel:DWORD src1_sel:WORD_1
	v_mov_b32_e32 v1, 0
	v_mov_b32_e32 v6, v3
	v_mov_b32_e32 v2, 0
	s_waitcnt lgkmcnt(0)
	s_load_dwordx2 s[2:3], s[14:15], 0x0
	v_cmp_lt_u64_e64 s0, s[10:11], 2
	s_and_b32 vcc_lo, exec_lo, s0
	s_cbranch_vccnz .LBB0_8
; %bb.1:
	s_load_dwordx2 s[0:1], s[4:5], 0x10
	v_mov_b32_e32 v1, 0
	s_add_u32 s6, s14, 8
	v_mov_b32_e32 v2, 0
	s_addc_u32 s7, s15, 0
	s_mov_b64 s[18:19], 1
	s_waitcnt lgkmcnt(0)
	s_add_u32 s16, s0, 8
	s_addc_u32 s17, s1, 0
.LBB0_2:                                ; =>This Inner Loop Header: Depth=1
	s_load_dwordx2 s[20:21], s[16:17], 0x0
                                        ; implicit-def: $vgpr7_vgpr8
	s_mov_b32 s0, exec_lo
	s_waitcnt lgkmcnt(0)
	v_or_b32_e32 v4, s21, v6
	v_cmpx_ne_u64_e32 0, v[3:4]
	s_xor_b32 s1, exec_lo, s0
	s_cbranch_execz .LBB0_4
; %bb.3:                                ;   in Loop: Header=BB0_2 Depth=1
	v_cvt_f32_u32_e32 v4, s20
	v_cvt_f32_u32_e32 v7, s21
	s_sub_u32 s0, 0, s20
	s_subb_u32 s22, 0, s21
	v_fmac_f32_e32 v4, 0x4f800000, v7
	v_rcp_f32_e32 v4, v4
	v_mul_f32_e32 v4, 0x5f7ffffc, v4
	v_mul_f32_e32 v7, 0x2f800000, v4
	v_trunc_f32_e32 v7, v7
	v_fmac_f32_e32 v4, 0xcf800000, v7
	v_cvt_u32_f32_e32 v7, v7
	v_cvt_u32_f32_e32 v4, v4
	v_mul_lo_u32 v8, s0, v7
	v_mul_hi_u32 v9, s0, v4
	v_mul_lo_u32 v10, s22, v4
	v_add_nc_u32_e32 v8, v9, v8
	v_mul_lo_u32 v9, s0, v4
	v_add_nc_u32_e32 v8, v8, v10
	v_mul_hi_u32 v10, v4, v9
	v_mul_lo_u32 v11, v4, v8
	v_mul_hi_u32 v12, v4, v8
	v_mul_hi_u32 v13, v7, v9
	v_mul_lo_u32 v9, v7, v9
	v_mul_hi_u32 v14, v7, v8
	v_mul_lo_u32 v8, v7, v8
	v_add_co_u32 v10, vcc_lo, v10, v11
	v_add_co_ci_u32_e32 v11, vcc_lo, 0, v12, vcc_lo
	v_add_co_u32 v9, vcc_lo, v10, v9
	v_add_co_ci_u32_e32 v9, vcc_lo, v11, v13, vcc_lo
	v_add_co_ci_u32_e32 v10, vcc_lo, 0, v14, vcc_lo
	v_add_co_u32 v8, vcc_lo, v9, v8
	v_add_co_ci_u32_e32 v9, vcc_lo, 0, v10, vcc_lo
	v_add_co_u32 v4, vcc_lo, v4, v8
	v_add_co_ci_u32_e32 v7, vcc_lo, v7, v9, vcc_lo
	v_mul_hi_u32 v8, s0, v4
	v_mul_lo_u32 v10, s22, v4
	v_mul_lo_u32 v9, s0, v7
	v_add_nc_u32_e32 v8, v8, v9
	v_mul_lo_u32 v9, s0, v4
	v_add_nc_u32_e32 v8, v8, v10
	v_mul_hi_u32 v10, v4, v9
	v_mul_lo_u32 v11, v4, v8
	v_mul_hi_u32 v12, v4, v8
	v_mul_hi_u32 v13, v7, v9
	v_mul_lo_u32 v9, v7, v9
	v_mul_hi_u32 v14, v7, v8
	v_mul_lo_u32 v8, v7, v8
	v_add_co_u32 v10, vcc_lo, v10, v11
	v_add_co_ci_u32_e32 v11, vcc_lo, 0, v12, vcc_lo
	v_add_co_u32 v9, vcc_lo, v10, v9
	v_add_co_ci_u32_e32 v9, vcc_lo, v11, v13, vcc_lo
	v_add_co_ci_u32_e32 v10, vcc_lo, 0, v14, vcc_lo
	v_add_co_u32 v8, vcc_lo, v9, v8
	v_add_co_ci_u32_e32 v9, vcc_lo, 0, v10, vcc_lo
	v_add_co_u32 v4, vcc_lo, v4, v8
	v_add_co_ci_u32_e32 v11, vcc_lo, v7, v9, vcc_lo
	v_mul_hi_u32 v13, v5, v4
	v_mad_u64_u32 v[9:10], null, v6, v4, 0
	v_mad_u64_u32 v[7:8], null, v5, v11, 0
	;; [unrolled: 1-line block ×3, first 2 shown]
	v_add_co_u32 v4, vcc_lo, v13, v7
	v_add_co_ci_u32_e32 v7, vcc_lo, 0, v8, vcc_lo
	v_add_co_u32 v4, vcc_lo, v4, v9
	v_add_co_ci_u32_e32 v4, vcc_lo, v7, v10, vcc_lo
	v_add_co_ci_u32_e32 v7, vcc_lo, 0, v12, vcc_lo
	v_add_co_u32 v4, vcc_lo, v4, v11
	v_add_co_ci_u32_e32 v9, vcc_lo, 0, v7, vcc_lo
	v_mul_lo_u32 v10, s21, v4
	v_mad_u64_u32 v[7:8], null, s20, v4, 0
	v_mul_lo_u32 v11, s20, v9
	v_sub_co_u32 v7, vcc_lo, v5, v7
	v_add3_u32 v8, v8, v11, v10
	v_sub_nc_u32_e32 v10, v6, v8
	v_subrev_co_ci_u32_e64 v10, s0, s21, v10, vcc_lo
	v_add_co_u32 v11, s0, v4, 2
	v_add_co_ci_u32_e64 v12, s0, 0, v9, s0
	v_sub_co_u32 v13, s0, v7, s20
	v_sub_co_ci_u32_e32 v8, vcc_lo, v6, v8, vcc_lo
	v_subrev_co_ci_u32_e64 v10, s0, 0, v10, s0
	v_cmp_le_u32_e32 vcc_lo, s20, v13
	v_cmp_eq_u32_e64 s0, s21, v8
	v_cndmask_b32_e64 v13, 0, -1, vcc_lo
	v_cmp_le_u32_e32 vcc_lo, s21, v10
	v_cndmask_b32_e64 v14, 0, -1, vcc_lo
	v_cmp_le_u32_e32 vcc_lo, s20, v7
	;; [unrolled: 2-line block ×3, first 2 shown]
	v_cndmask_b32_e64 v15, 0, -1, vcc_lo
	v_cmp_eq_u32_e32 vcc_lo, s21, v10
	v_cndmask_b32_e64 v7, v15, v7, s0
	v_cndmask_b32_e32 v10, v14, v13, vcc_lo
	v_add_co_u32 v13, vcc_lo, v4, 1
	v_add_co_ci_u32_e32 v14, vcc_lo, 0, v9, vcc_lo
	v_cmp_ne_u32_e32 vcc_lo, 0, v10
	v_cndmask_b32_e32 v8, v14, v12, vcc_lo
	v_cndmask_b32_e32 v10, v13, v11, vcc_lo
	v_cmp_ne_u32_e32 vcc_lo, 0, v7
	v_cndmask_b32_e32 v8, v9, v8, vcc_lo
	v_cndmask_b32_e32 v7, v4, v10, vcc_lo
.LBB0_4:                                ;   in Loop: Header=BB0_2 Depth=1
	s_andn2_saveexec_b32 s0, s1
	s_cbranch_execz .LBB0_6
; %bb.5:                                ;   in Loop: Header=BB0_2 Depth=1
	v_cvt_f32_u32_e32 v4, s20
	s_sub_i32 s1, 0, s20
	v_rcp_iflag_f32_e32 v4, v4
	v_mul_f32_e32 v4, 0x4f7ffffe, v4
	v_cvt_u32_f32_e32 v4, v4
	v_mul_lo_u32 v7, s1, v4
	v_mul_hi_u32 v7, v4, v7
	v_add_nc_u32_e32 v4, v4, v7
	v_mul_hi_u32 v4, v5, v4
	v_mul_lo_u32 v7, v4, s20
	v_add_nc_u32_e32 v8, 1, v4
	v_sub_nc_u32_e32 v7, v5, v7
	v_subrev_nc_u32_e32 v9, s20, v7
	v_cmp_le_u32_e32 vcc_lo, s20, v7
	v_cndmask_b32_e32 v7, v7, v9, vcc_lo
	v_cndmask_b32_e32 v4, v4, v8, vcc_lo
	v_cmp_le_u32_e32 vcc_lo, s20, v7
	v_add_nc_u32_e32 v8, 1, v4
	v_cndmask_b32_e32 v7, v4, v8, vcc_lo
	v_mov_b32_e32 v8, v3
.LBB0_6:                                ;   in Loop: Header=BB0_2 Depth=1
	s_or_b32 exec_lo, exec_lo, s0
	s_load_dwordx2 s[0:1], s[6:7], 0x0
	v_mul_lo_u32 v4, v8, s20
	v_mul_lo_u32 v11, v7, s21
	v_mad_u64_u32 v[9:10], null, v7, s20, 0
	s_add_u32 s18, s18, 1
	s_addc_u32 s19, s19, 0
	s_add_u32 s6, s6, 8
	s_addc_u32 s7, s7, 0
	;; [unrolled: 2-line block ×3, first 2 shown]
	v_add3_u32 v4, v10, v11, v4
	v_sub_co_u32 v5, vcc_lo, v5, v9
	v_sub_co_ci_u32_e32 v4, vcc_lo, v6, v4, vcc_lo
	s_waitcnt lgkmcnt(0)
	v_mul_lo_u32 v6, s1, v5
	v_mul_lo_u32 v4, s0, v4
	v_mad_u64_u32 v[1:2], null, s0, v5, v[1:2]
	v_cmp_ge_u64_e64 s0, s[18:19], s[10:11]
	s_and_b32 vcc_lo, exec_lo, s0
	v_add3_u32 v2, v6, v2, v4
	s_cbranch_vccnz .LBB0_9
; %bb.7:                                ;   in Loop: Header=BB0_2 Depth=1
	v_mov_b32_e32 v5, v7
	v_mov_b32_e32 v6, v8
	s_branch .LBB0_2
.LBB0_8:
	v_mov_b32_e32 v8, v6
	v_mov_b32_e32 v7, v5
.LBB0_9:
	s_lshl_b64 s[0:1], s[10:11], 3
	v_mul_hi_u32 v3, 0x3291620, v0
	s_add_u32 s0, s14, s0
	s_addc_u32 s1, s15, s1
	s_load_dwordx2 s[4:5], s[4:5], 0x20
	s_load_dwordx2 s[0:1], s[0:1], 0x0
                                        ; implicit-def: $vgpr38
                                        ; implicit-def: $vgpr37
                                        ; implicit-def: $vgpr39
                                        ; implicit-def: $vgpr40
                                        ; implicit-def: $vgpr41
                                        ; implicit-def: $vgpr42
                                        ; implicit-def: $vgpr43
                                        ; implicit-def: $vgpr44
                                        ; implicit-def: $vgpr45
	v_mul_u32_u24_e32 v3, 0x51, v3
	v_sub_nc_u32_e32 v34, v0, v3
	v_add_nc_u32_e32 v33, 0x51, v34
	v_add_nc_u32_e32 v28, 0xa2, v34
	;; [unrolled: 1-line block ×5, first 2 shown]
	s_waitcnt lgkmcnt(0)
	v_cmp_gt_u64_e32 vcc_lo, s[4:5], v[7:8]
	v_mul_lo_u32 v3, s0, v8
	v_mul_lo_u32 v4, s1, v7
	v_mad_u64_u32 v[0:1], null, s0, v7, v[1:2]
	v_cmp_le_u64_e64 s0, s[4:5], v[7:8]
	v_add_nc_u32_e32 v20, 0x1e6, v34
	v_add_nc_u32_e32 v17, 0x237, v34
	;; [unrolled: 1-line block ×4, first 2 shown]
	v_add3_u32 v1, v4, v1, v3
	s_and_saveexec_b32 s1, s0
	s_xor_b32 s0, exec_lo, s1
; %bb.10:
	v_add_nc_u32_e32 v38, 0x51, v34
	v_add_nc_u32_e32 v37, 0xa2, v34
	;; [unrolled: 1-line block ×9, first 2 shown]
; %bb.11:
	s_or_saveexec_b32 s1, s0
	v_lshlrev_b64 v[0:1], 2, v[0:1]
	v_add_nc_u32_e32 v30, 0x3cc, v34
	v_add_nc_u32_e32 v31, 0x6a5, v34
	;; [unrolled: 1-line block ×12, first 2 shown]
                                        ; implicit-def: $vgpr7
                                        ; implicit-def: $vgpr11
                                        ; implicit-def: $vgpr53
                                        ; implicit-def: $vgpr55
                                        ; implicit-def: $vgpr10
                                        ; implicit-def: $vgpr9
                                        ; implicit-def: $vgpr54
                                        ; implicit-def: $vgpr50
                                        ; implicit-def: $vgpr13
                                        ; implicit-def: $vgpr12
                                        ; implicit-def: $vgpr56
                                        ; implicit-def: $vgpr51
                                        ; implicit-def: $vgpr46
                                        ; implicit-def: $vgpr4
                                        ; implicit-def: $vgpr57
                                        ; implicit-def: $vgpr47
                                        ; implicit-def: $vgpr6
                                        ; implicit-def: $vgpr3
                                        ; implicit-def: $vgpr5
                                        ; implicit-def: $vgpr2
                                        ; implicit-def: $vgpr68
                                        ; implicit-def: $vgpr65
                                        ; implicit-def: $vgpr89
                                        ; implicit-def: $vgpr82
                                        ; implicit-def: $vgpr69
                                        ; implicit-def: $vgpr66
                                        ; implicit-def: $vgpr90
                                        ; implicit-def: $vgpr81
                                        ; implicit-def: $vgpr70
                                        ; implicit-def: $vgpr48
                                        ; implicit-def: $vgpr91
                                        ; implicit-def: $vgpr59
                                        ; implicit-def: $vgpr80
                                        ; implicit-def: $vgpr49
                                        ; implicit-def: $vgpr92
                                        ; implicit-def: $vgpr64
                                        ; implicit-def: $vgpr67
                                        ; implicit-def: $vgpr14
                                        ; implicit-def: $vgpr61
                                        ; implicit-def: $vgpr8
                                        ; implicit-def: $vgpr77
                                        ; implicit-def: $vgpr74
                                        ; implicit-def: $vgpr84
                                        ; implicit-def: $vgpr75
                                        ; implicit-def: $vgpr78
                                        ; implicit-def: $vgpr60
                                        ; implicit-def: $vgpr85
                                        ; implicit-def: $vgpr71
                                        ; implicit-def: $vgpr79
                                        ; implicit-def: $vgpr62
                                        ; implicit-def: $vgpr86
                                        ; implicit-def: $vgpr72
                                        ; implicit-def: $vgpr83
                                        ; implicit-def: $vgpr63
                                        ; implicit-def: $vgpr87
                                        ; implicit-def: $vgpr73
                                        ; implicit-def: $vgpr76
                                        ; implicit-def: $vgpr58
                                        ; implicit-def: $vgpr93
                                        ; implicit-def: $vgpr52
	s_xor_b32 exec_lo, exec_lo, s1
	s_cbranch_execz .LBB0_13
; %bb.12:
	v_mad_u64_u32 v[7:8], null, s2, v25, 0
	v_mad_u64_u32 v[2:3], null, s2, v34, 0
	;; [unrolled: 1-line block ×4, first 2 shown]
	v_mov_b32_e32 v4, v8
	v_add_nc_u32_e32 v43, 0x4bf, v34
	v_mad_u64_u32 v[76:77], null, s2, v26, 0
	v_mad_u64_u32 v[5:6], null, s3, v34, v[3:4]
	v_mov_b32_e32 v3, v10
	v_mad_u64_u32 v[37:38], null, s3, v20, v[3:4]
	v_mad_u64_u32 v[13:14], null, s3, v25, v[4:5]
	v_mov_b32_e32 v3, v5
	v_add_co_u32 v5, s0, s12, v0
	v_mov_b32_e32 v4, v12
	v_mov_b32_e32 v10, v37
	v_lshlrev_b64 v[2:3], 2, v[2:3]
	v_mov_b32_e32 v8, v13
	v_mad_u64_u32 v[13:14], null, s2, v30, 0
	v_mad_u64_u32 v[37:38], null, s3, v15, v[4:5]
	;; [unrolled: 1-line block ×3, first 2 shown]
	v_add_co_ci_u32_e64 v6, s0, s13, v1, s0
	v_mov_b32_e32 v4, v14
	v_lshlrev_b64 v[7:8], 2, v[7:8]
	v_mov_b32_e32 v12, v37
	v_add_nc_u32_e32 v37, 0x5b2, v34
	v_add_co_u32 v2, s0, v5, v2
	v_mad_u64_u32 v[40:41], null, s3, v30, v[4:5]
	v_mov_b32_e32 v4, v39
	v_mad_u64_u32 v[41:42], null, s2, v37, 0
	v_lshlrev_b64 v[9:10], 2, v[9:10]
	v_add_co_ci_u32_e64 v3, s0, v6, v3, s0
	v_mov_b32_e32 v14, v40
	v_mad_u64_u32 v[39:40], null, s3, v43, v[4:5]
	v_mad_u64_u32 v[43:44], null, s2, v31, 0
	v_mov_b32_e32 v4, v42
	v_add_co_u32 v7, s0, v5, v7
	v_lshlrev_b64 v[11:12], 2, v[11:12]
	v_add_co_ci_u32_e64 v8, s0, v6, v8, s0
	v_mad_u64_u32 v[45:46], null, s3, v37, v[4:5]
	v_mov_b32_e32 v4, v44
	v_lshlrev_b64 v[37:38], 2, v[38:39]
	v_mad_u64_u32 v[46:47], null, s2, v23, 0
	v_add_co_u32 v9, s0, v5, v9
	v_mad_u64_u32 v[39:40], null, s3, v31, v[4:5]
	v_lshlrev_b64 v[13:14], 2, v[13:14]
	v_mov_b32_e32 v42, v45
	v_add_co_ci_u32_e64 v10, s0, v6, v10, s0
	v_add_co_u32 v11, s0, v5, v11
	v_mov_b32_e32 v44, v39
	v_add_co_ci_u32_e64 v12, s0, v6, v12, s0
	v_add_co_u32 v13, s0, v5, v13
	v_lshlrev_b64 v[39:40], 2, v[41:42]
	v_mov_b32_e32 v4, v47
	v_mad_u64_u32 v[41:42], null, s2, v18, 0
	v_add_co_ci_u32_e64 v14, s0, v6, v14, s0
	v_add_co_u32 v37, s0, v5, v37
	v_lshlrev_b64 v[43:44], 2, v[43:44]
	v_add_co_ci_u32_e64 v38, s0, v6, v38, s0
	v_mad_u64_u32 v[47:48], null, s3, v23, v[4:5]
	v_add_co_u32 v39, s0, v5, v39
	v_mad_u64_u32 v[48:49], null, s2, v33, 0
	v_add_co_ci_u32_e64 v40, s0, v6, v40, s0
	v_mov_b32_e32 v4, v42
	v_add_co_u32 v42, s0, v5, v43
	v_add_co_ci_u32_e64 v43, s0, v6, v44, s0
	s_clause 0x7
	global_load_dword v52, v[2:3], off
	global_load_dword v58, v[7:8], off
	;; [unrolled: 1-line block ×8, first 2 shown]
	v_mad_u64_u32 v[7:8], null, s2, v22, 0
	v_mad_u64_u32 v[44:45], null, s3, v18, v[4:5]
	v_mov_b32_e32 v4, v49
	v_mad_u64_u32 v[12:13], null, s2, v17, 0
	v_lshlrev_b64 v[2:3], 2, v[46:47]
	v_mad_u64_u32 v[9:10], null, s3, v33, v[4:5]
	v_mov_b32_e32 v4, v8
	v_mov_b32_e32 v42, v44
	v_add_co_u32 v2, s0, v5, v2
	v_add_co_ci_u32_e64 v3, s0, v6, v3, s0
	v_mad_u64_u32 v[37:38], null, s3, v22, v[4:5]
	v_lshlrev_b64 v[10:11], 2, v[41:42]
	v_mad_u64_u32 v[40:41], null, s2, v35, 0
	v_mov_b32_e32 v49, v9
	v_mov_b32_e32 v4, v13
	v_mad_u64_u32 v[42:43], null, s2, v27, 0
	v_mov_b32_e32 v8, v37
	v_lshlrev_b64 v[38:39], 2, v[48:49]
	v_mad_u64_u32 v[13:14], null, s3, v17, v[4:5]
	v_mov_b32_e32 v4, v41
	v_add_co_u32 v9, s0, v5, v10
	v_lshlrev_b64 v[7:8], 2, v[7:8]
	v_add_nc_u32_e32 v14, 0x510, v34
	v_add_co_ci_u32_e64 v10, s0, v6, v11, s0
	v_add_co_u32 v37, s0, v5, v38
	v_mad_u64_u32 v[44:45], null, s3, v35, v[4:5]
	v_add_co_ci_u32_e64 v38, s0, v6, v39, s0
	v_mov_b32_e32 v4, v43
	v_mad_u64_u32 v[45:46], null, s2, v14, 0
	v_add_co_u32 v47, s0, v5, v7
	v_add_co_ci_u32_e64 v48, s0, v6, v8, s0
	v_lshlrev_b64 v[7:8], 2, v[12:13]
	v_mov_b32_e32 v41, v44
	v_mad_u64_u32 v[11:12], null, s3, v27, v[4:5]
	v_mov_b32_e32 v4, v46
	v_add_nc_u32_e32 v44, 0x603, v34
	v_add_co_u32 v12, s0, v5, v7
	v_add_co_ci_u32_e64 v13, s0, v6, v8, s0
	v_lshlrev_b64 v[7:8], 2, v[40:41]
	v_mad_u64_u32 v[39:40], null, s3, v14, v[4:5]
	v_mov_b32_e32 v43, v11
	v_mad_u64_u32 v[40:41], null, s2, v44, 0
	v_add_co_u32 v49, s0, v5, v7
	v_add_co_ci_u32_e64 v50, s0, v6, v8, s0
	v_lshlrev_b64 v[7:8], 2, v[42:43]
	v_mov_b32_e32 v46, v39
	v_mad_u64_u32 v[42:43], null, s2, v29, 0
	v_mov_b32_e32 v4, v41
	v_add_nc_u32_e32 v11, 0x7e9, v34
	v_add_co_u32 v53, s0, v5, v7
	v_add_co_ci_u32_e64 v54, s0, v6, v8, s0
	v_lshlrev_b64 v[7:8], 2, v[45:46]
	v_mad_u64_u32 v[44:45], null, s3, v44, v[4:5]
	v_mov_b32_e32 v4, v43
	v_mad_u64_u32 v[45:46], null, s2, v11, 0
	v_add_co_u32 v55, s0, v5, v7
	v_add_co_ci_u32_e64 v56, s0, v6, v8, s0
	v_mad_u64_u32 v[7:8], null, s3, v29, v[4:5]
	s_clause 0x7
	global_load_dword v75, v[2:3], off
	global_load_dword v74, v[9:10], off
	;; [unrolled: 1-line block ×8, first 2 shown]
	v_add_nc_u32_e32 v39, 0x8dc, v34
	v_mov_b32_e32 v4, v46
	v_mov_b32_e32 v41, v44
	v_mad_u64_u32 v[53:54], null, s2, v32, 0
	v_mad_u64_u32 v[65:66], null, s2, v39, 0
	;; [unrolled: 1-line block ×4, first 2 shown]
	v_mov_b32_e32 v43, v7
	v_lshlrev_b64 v[2:3], 2, v[40:41]
	v_mov_b32_e32 v4, v66
	v_mov_b32_e32 v46, v9
	v_lshlrev_b64 v[12:13], 2, v[42:43]
	v_mad_u64_u32 v[37:38], null, s3, v39, v[4:5]
	v_mad_u64_u32 v[38:39], null, s2, v21, 0
	v_mov_b32_e32 v4, v11
	v_add_co_u32 v2, s0, v5, v2
	v_lshlrev_b64 v[40:41], 2, v[45:46]
	v_mov_b32_e32 v66, v37
	v_mad_u64_u32 v[42:43], null, s3, v28, v[4:5]
	v_mov_b32_e32 v4, v39
	v_mad_u64_u32 v[43:44], null, s2, v16, 0
	v_add_co_ci_u32_e64 v3, s0, v6, v3, s0
	v_mad_u64_u32 v[50:51], null, s3, v21, v[4:5]
	v_mov_b32_e32 v11, v42
	v_add_co_u32 v12, s0, v5, v12
	v_mov_b32_e32 v4, v44
	v_lshlrev_b64 v[45:46], 2, v[65:66]
	v_add_co_ci_u32_e64 v13, s0, v6, v13, s0
	v_mov_b32_e32 v39, v50
	v_mad_u64_u32 v[50:51], null, s3, v16, v[4:5]
	v_mov_b32_e32 v4, v54
	v_add_co_u32 v40, s0, v5, v40
	v_lshlrev_b64 v[9:10], 2, v[10:11]
	v_add_co_ci_u32_e64 v41, s0, v6, v41, s0
	v_mad_u64_u32 v[54:55], null, s3, v32, v[4:5]
	v_mad_u64_u32 v[55:56], null, s2, v24, 0
	v_mov_b32_e32 v44, v50
	v_mad_u64_u32 v[50:51], null, s2, v19, 0
	v_add_co_u32 v45, s0, v5, v45
	v_lshlrev_b64 v[37:38], 2, v[38:39]
	v_mov_b32_e32 v4, v56
	v_add_co_ci_u32_e64 v46, s0, v6, v46, s0
	v_add_co_u32 v9, s0, v5, v9
	v_mad_u64_u32 v[56:57], null, s3, v24, v[4:5]
	v_mov_b32_e32 v4, v51
	v_lshlrev_b64 v[42:43], 2, v[43:44]
	v_add_co_ci_u32_e64 v10, s0, v6, v10, s0
	v_add_co_u32 v37, s0, v5, v37
	v_mad_u64_u32 v[67:68], null, s3, v19, v[4:5]
	v_mad_u64_u32 v[68:69], null, s2, v36, 0
	v_lshlrev_b64 v[53:54], 2, v[53:54]
	v_add_co_ci_u32_e64 v38, s0, v6, v38, s0
	v_add_co_u32 v42, s0, v5, v42
	v_add_co_ci_u32_e64 v43, s0, v6, v43, s0
	v_add_co_u32 v53, s0, v5, v53
	v_mov_b32_e32 v7, v69
	v_add_co_ci_u32_e64 v54, s0, v6, v54, s0
	s_clause 0x7
	global_load_dword v81, v[2:3], off
	global_load_dword v66, v[12:13], off
	;; [unrolled: 1-line block ×8, first 2 shown]
	v_add_nc_u32_e32 v42, 0x83a, v34
	v_add_nc_u32_e32 v45, 0x92d, v34
	v_mov_b32_e32 v51, v67
	v_lshlrev_b64 v[9:10], 2, v[55:56]
	v_lshlrev_b64 v[40:41], 2, v[50:51]
	v_add_co_u32 v9, s0, v5, v9
	v_add_co_ci_u32_e64 v10, s0, v6, v10, s0
	v_add_co_u32 v40, s0, v5, v40
	v_add_co_ci_u32_e64 v41, s0, v6, v41, s0
	s_waitcnt vmcnt(23)
	v_lshrrev_b32_e32 v93, 16, v52
	s_waitcnt vmcnt(21)
	v_lshrrev_b32_e32 v87, 16, v73
	;; [unrolled: 2-line block ×8, first 2 shown]
	s_waitcnt vmcnt(13)
	v_mad_u64_u32 v[11:12], null, s3, v36, v[7:8]
	v_mov_b32_e32 v7, v77
	v_mad_u64_u32 v[12:13], null, s2, v42, 0
	v_lshrrev_b32_e32 v61, 16, v8
	s_waitcnt vmcnt(12)
	v_lshrrev_b32_e32 v67, 16, v14
	v_mad_u64_u32 v[37:38], null, s3, v26, v[7:8]
	v_mad_u64_u32 v[38:39], null, s2, v45, 0
	v_mov_b32_e32 v7, v13
	v_mov_b32_e32 v69, v11
	s_waitcnt vmcnt(11)
	v_lshrrev_b32_e32 v92, 16, v64
	s_waitcnt vmcnt(10)
	v_lshrrev_b32_e32 v80, 16, v49
	v_mov_b32_e32 v77, v37
	v_mad_u64_u32 v[42:43], null, s3, v42, v[7:8]
	v_mov_b32_e32 v7, v39
	v_lshlrev_b64 v[43:44], 2, v[68:69]
	v_lshlrev_b64 v[50:51], 2, v[76:77]
	v_lshrrev_b32_e32 v76, 16, v58
	v_lshrrev_b32_e32 v77, 16, v74
	v_mad_u64_u32 v[45:46], null, s3, v45, v[7:8]
	v_mov_b32_e32 v13, v42
	v_add_co_u32 v42, s0, v5, v43
	v_add_co_ci_u32_e64 v43, s0, v6, v44, s0
	v_lshlrev_b64 v[11:12], 2, v[12:13]
	v_mov_b32_e32 v39, v45
	v_add_co_u32 v44, s0, v5, v50
	v_add_co_ci_u32_e64 v45, s0, v6, v51, s0
	v_lshlrev_b64 v[37:38], 2, v[38:39]
	v_add_co_u32 v53, s0, v5, v11
	v_add_co_ci_u32_e64 v54, s0, v6, v12, s0
	s_waitcnt vmcnt(9)
	v_lshrrev_b32_e32 v91, 16, v59
	v_add_co_u32 v5, s0, v5, v37
	v_add_co_ci_u32_e64 v6, s0, v6, v38, s0
	s_clause 0x5
	global_load_dword v51, v[9:10], off
	global_load_dword v12, v[40:41], off
	global_load_dword v50, v[42:43], off
	global_load_dword v9, v[44:45], off
	global_load_dword v55, v[53:54], off
	global_load_dword v11, v[5:6], off
	s_waitcnt vmcnt(14)
	v_lshrrev_b32_e32 v70, 16, v48
	v_mov_b32_e32 v45, v15
	v_mov_b32_e32 v44, v16
	;; [unrolled: 1-line block ×9, first 2 shown]
	s_waitcnt vmcnt(13)
	v_lshrrev_b32_e32 v90, 16, v81
	s_waitcnt vmcnt(12)
	v_lshrrev_b32_e32 v69, 16, v66
	;; [unrolled: 2-line block ×14, first 2 shown]
.LBB0_13:
	s_or_b32 exec_lo, exec_lo, s1
	v_add_f16_e32 v88, v71, v72
	v_add_f16_e32 v94, v73, v52
	v_sub_f16_e32 v95, v87, v84
	v_add_f16_e32 v99, v75, v73
	v_sub_f16_e32 v96, v86, v85
	v_fma_f16 v88, -0.5, v88, v52
	v_add_f16_e32 v94, v72, v94
	v_add_f16_e32 v102, v87, v93
	v_fmac_f16_e32 v52, -0.5, v99
	v_sub_f16_e32 v97, v73, v72
	v_fmamk_f16 v101, v95, 0xbb9c, v88
	v_fmac_f16_e32 v88, 0x3b9c, v95
	v_sub_f16_e32 v98, v75, v71
	v_add_f16_e32 v94, v71, v94
	v_fmamk_f16 v99, v96, 0x3b9c, v52
	v_fmac_f16_e32 v101, 0xb8b4, v96
	v_fmac_f16_e32 v88, 0x38b4, v96
	;; [unrolled: 1-line block ×3, first 2 shown]
	v_add_f16_e32 v96, v86, v102
	v_sub_f16_e32 v100, v72, v73
	v_add_f16_e32 v97, v98, v97
	v_sub_f16_e32 v98, v71, v75
	v_add_f16_e32 v94, v75, v94
	v_add_f16_e32 v103, v85, v86
	v_sub_f16_e32 v73, v73, v75
	v_add_f16_e32 v75, v85, v96
	v_add_f16_e32 v96, v84, v87
	v_fmac_f16_e32 v101, 0x34f2, v97
	v_add_f16_e32 v98, v98, v100
	v_fma_f16 v100, -0.5, v103, v93
	v_fmac_f16_e32 v88, 0x34f2, v97
	v_sub_f16_e32 v71, v72, v71
	v_sub_f16_e32 v72, v87, v86
	;; [unrolled: 1-line block ×3, first 2 shown]
	v_fmac_f16_e32 v93, -0.5, v96
	v_fmac_f16_e32 v99, 0xb8b4, v95
	v_fmac_f16_e32 v52, 0x38b4, v95
	v_fmamk_f16 v95, v73, 0x3b9c, v100
	v_add_f16_e32 v96, v84, v75
	v_add_f16_e32 v72, v97, v72
	v_fmac_f16_e32 v100, 0xbb9c, v73
	v_fmamk_f16 v97, v71, 0xbb9c, v93
	v_sub_f16_e32 v75, v86, v87
	v_sub_f16_e32 v84, v85, v84
	v_fmac_f16_e32 v93, 0x3b9c, v71
	v_fmac_f16_e32 v95, 0x38b4, v71
	;; [unrolled: 1-line block ×4, first 2 shown]
	v_add_f16_e32 v75, v84, v75
	v_add_f16_e32 v84, v60, v62
	v_fmac_f16_e32 v93, 0xb8b4, v73
	v_add_f16_e32 v73, v74, v63
	v_fmac_f16_e32 v95, 0x34f2, v72
	;; [unrolled: 2-line block ×3, first 2 shown]
	v_fmac_f16_e32 v97, 0x34f2, v75
	v_fma_f16 v72, -0.5, v84, v58
	v_sub_f16_e32 v84, v83, v77
	v_fmac_f16_e32 v93, 0x34f2, v75
	v_sub_f16_e32 v75, v79, v78
	v_fmac_f16_e32 v58, -0.5, v73
	v_add_f16_e32 v71, v62, v85
	v_fmamk_f16 v73, v84, 0xbb9c, v72
	v_fmac_f16_e32 v72, 0x3b9c, v84
	v_fmac_f16_e32 v99, 0x34f2, v98
	v_fmamk_f16 v87, v75, 0x3b9c, v58
	v_fmac_f16_e32 v58, 0xbb9c, v75
	v_fmac_f16_e32 v52, 0x34f2, v98
	v_add_f16_e32 v71, v60, v71
	v_sub_f16_e32 v85, v63, v62
	v_sub_f16_e32 v86, v74, v60
	;; [unrolled: 1-line block ×4, first 2 shown]
	v_fmac_f16_e32 v73, 0xb8b4, v75
	v_fmac_f16_e32 v72, 0x38b4, v75
	;; [unrolled: 1-line block ×3, first 2 shown]
	v_add_f16_e32 v75, v78, v79
	v_fmac_f16_e32 v58, 0x38b4, v84
	v_add_f16_e32 v84, v77, v83
	v_add_f16_e32 v71, v74, v71
	v_add_f16_e32 v85, v86, v85
	v_add_f16_e32 v86, v102, v98
	v_fma_f16 v75, -0.5, v75, v76
	v_sub_f16_e32 v63, v63, v74
	v_add_f16_e32 v74, v83, v76
	v_sub_f16_e32 v60, v62, v60
	v_fmac_f16_e32 v76, -0.5, v84
	v_fmac_f16_e32 v87, 0x34f2, v86
	v_fmac_f16_e32 v58, 0x34f2, v86
	v_sub_f16_e32 v62, v83, v79
	v_sub_f16_e32 v83, v79, v83
	v_fmamk_f16 v86, v60, 0xbb9c, v76
	v_sub_f16_e32 v98, v78, v77
	v_fmac_f16_e32 v76, 0x3b9c, v60
	v_fmac_f16_e32 v73, 0x34f2, v85
	;; [unrolled: 1-line block ×3, first 2 shown]
	v_fmamk_f16 v85, v63, 0x3b9c, v75
	v_sub_f16_e32 v84, v77, v78
	v_add_f16_e32 v83, v98, v83
	v_fmac_f16_e32 v76, 0xb8b4, v63
	v_fmac_f16_e32 v86, 0x38b4, v63
	;; [unrolled: 1-line block ×3, first 2 shown]
	v_add_f16_e32 v62, v84, v62
	v_fmac_f16_e32 v75, 0xbb9c, v63
	v_fmac_f16_e32 v76, 0x34f2, v83
	v_add_f16_e32 v63, v79, v74
	v_fmac_f16_e32 v86, 0x34f2, v83
	v_fmac_f16_e32 v85, 0x34f2, v62
	;; [unrolled: 1-line block ×3, first 2 shown]
	v_mul_f16_e32 v98, 0xbb9c, v76
	v_mul_f16_e32 v105, 0xb4f2, v76
	v_add_f16_e32 v60, v78, v63
	v_mul_f16_e32 v78, 0xb8b4, v85
	v_mul_f16_e32 v79, 0xbb9c, v86
	v_fmac_f16_e32 v75, 0x34f2, v62
	v_fmac_f16_e32 v98, 0xb4f2, v58
	v_mul_f16_e32 v103, 0x38b4, v73
	v_mul_f16_e32 v104, 0x3b9c, v87
	v_fmac_f16_e32 v105, 0x3b9c, v58
	v_add_f16_e32 v58, v81, v59
	v_add_f16_e32 v77, v77, v60
	v_fmac_f16_e32 v78, 0x3a79, v73
	v_fmac_f16_e32 v79, 0x34f2, v87
	v_mul_f16_e32 v102, 0xb8b4, v75
	v_add_f16_e32 v60, v71, v94
	v_add_f16_e32 v83, v52, v98
	v_mul_f16_e32 v106, 0xba79, v75
	v_fmac_f16_e32 v103, 0x3a79, v85
	v_fmac_f16_e32 v104, 0x34f2, v86
	v_sub_f16_e32 v85, v94, v71
	v_sub_f16_e32 v52, v52, v98
	v_add_f16_e32 v71, v64, v8
	v_fma_f16 v94, -0.5, v58, v8
	v_sub_f16_e32 v98, v92, v89
	v_add_f16_e32 v62, v101, v78
	v_add_f16_e32 v63, v99, v79
	v_fmac_f16_e32 v102, 0xba79, v72
	v_fmac_f16_e32 v106, 0x38b4, v72
	v_add_f16_e32 v72, v77, v96
	v_add_f16_e32 v73, v95, v103
	;; [unrolled: 1-line block ×3, first 2 shown]
	v_sub_f16_e32 v86, v101, v78
	v_sub_f16_e32 v87, v99, v79
	;; [unrolled: 1-line block ×5, first 2 shown]
	v_add_f16_e32 v71, v59, v71
	v_fmamk_f16 v95, v98, 0xbb9c, v94
	v_sub_f16_e32 v96, v91, v90
	v_sub_f16_e32 v97, v64, v59
	;; [unrolled: 1-line block ×3, first 2 shown]
	v_add_f16_e32 v101, v82, v64
	v_fmac_f16_e32 v94, 0x3b9c, v98
	v_add_f16_e32 v84, v88, v102
	v_add_f16_e32 v76, v93, v105
	;; [unrolled: 1-line block ×3, first 2 shown]
	v_sub_f16_e32 v88, v88, v102
	v_sub_f16_e32 v58, v93, v105
	v_add_f16_e32 v93, v81, v71
	v_fmac_f16_e32 v95, 0xb8b4, v96
	v_add_f16_e32 v97, v99, v97
	v_fmac_f16_e32 v8, -0.5, v101
	v_sub_f16_e32 v71, v100, v106
	v_sub_f16_e32 v100, v59, v64
	;; [unrolled: 1-line block ×3, first 2 shown]
	v_fmac_f16_e32 v94, 0x38b4, v96
	v_add_f16_e32 v102, v92, v61
	v_add_f16_e32 v103, v90, v91
	v_fmac_f16_e32 v95, 0x34f2, v97
	v_fmamk_f16 v99, v96, 0x3b9c, v8
	v_add_f16_e32 v100, v101, v100
	v_fmac_f16_e32 v8, 0xbb9c, v96
	v_add_f16_e32 v96, v91, v102
	v_fma_f16 v101, -0.5, v103, v61
	v_sub_f16_e32 v64, v64, v82
	v_fmac_f16_e32 v94, 0x34f2, v97
	v_add_f16_e32 v97, v89, v92
	v_add_f16_e32 v93, v82, v93
	v_fmac_f16_e32 v99, 0xb8b4, v98
	v_fmac_f16_e32 v8, 0x38b4, v98
	v_add_f16_e32 v82, v90, v96
	v_fmamk_f16 v96, v64, 0x3b9c, v101
	v_sub_f16_e32 v59, v59, v81
	v_sub_f16_e32 v81, v92, v91
	;; [unrolled: 1-line block ×3, first 2 shown]
	v_fmac_f16_e32 v61, -0.5, v97
	v_fmac_f16_e32 v101, 0xbb9c, v64
	v_add_f16_e32 v82, v89, v82
	v_fmac_f16_e32 v96, 0x38b4, v59
	v_add_f16_e32 v81, v98, v81
	v_fmamk_f16 v97, v59, 0xbb9c, v61
	v_sub_f16_e32 v91, v91, v92
	v_sub_f16_e32 v89, v90, v89
	v_add_f16_e32 v90, v49, v14
	v_fmac_f16_e32 v101, 0xb8b4, v59
	v_fmac_f16_e32 v61, 0x3b9c, v59
	v_fmac_f16_e32 v96, 0x34f2, v81
	v_fmac_f16_e32 v97, 0x38b4, v64
	v_add_f16_e32 v89, v89, v91
	v_add_f16_e32 v59, v48, v90
	;; [unrolled: 1-line block ×3, first 2 shown]
	v_fmac_f16_e32 v101, 0x34f2, v81
	v_fmac_f16_e32 v61, 0xb8b4, v64
	v_add_f16_e32 v81, v65, v49
	v_fmac_f16_e32 v97, 0x34f2, v89
	v_fma_f16 v64, -0.5, v90, v14
	v_sub_f16_e32 v90, v80, v68
	v_fmac_f16_e32 v61, 0x34f2, v89
	v_sub_f16_e32 v89, v70, v69
	v_fmac_f16_e32 v14, -0.5, v81
	v_fmac_f16_e32 v99, 0x34f2, v100
	v_fmamk_f16 v81, v90, 0xbb9c, v64
	v_fmac_f16_e32 v64, 0x3b9c, v90
	v_fmac_f16_e32 v8, 0x34f2, v100
	v_fmamk_f16 v98, v89, 0x3b9c, v14
	v_fmac_f16_e32 v14, 0xbb9c, v89
	v_add_f16_e32 v59, v66, v59
	v_sub_f16_e32 v91, v49, v48
	v_sub_f16_e32 v92, v65, v66
	;; [unrolled: 1-line block ×4, first 2 shown]
	v_fmac_f16_e32 v81, 0xb8b4, v89
	v_fmac_f16_e32 v64, 0x38b4, v89
	;; [unrolled: 1-line block ×3, first 2 shown]
	v_add_f16_e32 v89, v69, v70
	v_fmac_f16_e32 v14, 0x38b4, v90
	v_add_f16_e32 v90, v68, v80
	v_add_f16_e32 v59, v65, v59
	;; [unrolled: 1-line block ×4, first 2 shown]
	v_fma_f16 v89, -0.5, v89, v67
	v_sub_f16_e32 v49, v49, v65
	v_add_f16_e32 v65, v80, v67
	v_sub_f16_e32 v48, v48, v66
	v_fmac_f16_e32 v67, -0.5, v90
	v_fmac_f16_e32 v81, 0x34f2, v91
	v_fmac_f16_e32 v64, 0x34f2, v91
	;; [unrolled: 1-line block ×4, first 2 shown]
	v_fmamk_f16 v66, v49, 0x3b9c, v89
	v_sub_f16_e32 v90, v80, v70
	v_sub_f16_e32 v91, v68, v69
	v_fmamk_f16 v92, v48, 0xbb9c, v67
	v_sub_f16_e32 v80, v70, v80
	v_sub_f16_e32 v100, v69, v68
	v_fmac_f16_e32 v67, 0x3b9c, v48
	v_fmac_f16_e32 v89, 0xbb9c, v49
	v_add_f16_e32 v90, v91, v90
	v_fmac_f16_e32 v92, 0x38b4, v49
	v_add_f16_e32 v80, v100, v80
	;; [unrolled: 2-line block ×3, first 2 shown]
	v_fmac_f16_e32 v89, 0xb8b4, v48
	v_fmac_f16_e32 v66, 0x38b4, v48
	;; [unrolled: 1-line block ×4, first 2 shown]
	v_add_f16_e32 v48, v69, v49
	v_fmac_f16_e32 v89, 0x34f2, v90
	v_fmac_f16_e32 v66, 0x34f2, v90
	v_mul_f16_e32 v65, 0xbb9c, v92
	v_mul_f16_e32 v69, 0xbb9c, v67
	v_add_f16_e32 v48, v68, v48
	v_mul_f16_e32 v68, 0xb8b4, v89
	v_mul_f16_e32 v49, 0xb8b4, v66
	v_fmac_f16_e32 v65, 0x34f2, v98
	v_mul_f16_e32 v67, 0xb4f2, v67
	v_mul_f16_e32 v89, 0xba79, v89
	v_fmac_f16_e32 v68, 0xba79, v64
	v_fmac_f16_e32 v49, 0x3a79, v81
	;; [unrolled: 1-line block ×3, first 2 shown]
	v_add_f16_e32 v70, v59, v93
	v_add_f16_e32 v90, v99, v65
	v_mul_f16_e32 v81, 0x38b4, v81
	v_mul_f16_e32 v98, 0x3b9c, v98
	v_add_f16_e32 v100, v94, v68
	v_fmac_f16_e32 v67, 0x3b9c, v14
	v_fmac_f16_e32 v89, 0x38b4, v64
	v_sub_f16_e32 v14, v93, v59
	v_add_f16_e32 v59, v50, v51
	v_sub_f16_e32 v64, v99, v65
	v_sub_f16_e32 v65, v94, v68
	v_add_f16_e32 v94, v55, v47
	v_add_f16_e32 v91, v8, v69
	v_fmac_f16_e32 v81, 0x3a79, v66
	v_fmac_f16_e32 v98, 0x34f2, v92
	v_sub_f16_e32 v8, v8, v69
	v_add_f16_e32 v66, v47, v2
	v_fma_f16 v59, -0.5, v59, v2
	v_sub_f16_e32 v68, v57, v53
	v_sub_f16_e32 v69, v56, v54
	;; [unrolled: 1-line block ×4, first 2 shown]
	v_fmac_f16_e32 v2, -0.5, v94
	v_add_f16_e32 v80, v95, v49
	v_add_f16_e32 v102, v48, v82
	;; [unrolled: 1-line block ×5, first 2 shown]
	v_sub_f16_e32 v49, v95, v49
	v_sub_f16_e32 v82, v82, v48
	;; [unrolled: 1-line block ×4, first 2 shown]
	v_add_f16_e32 v48, v51, v66
	v_fmamk_f16 v66, v68, 0xbb9c, v59
	v_sub_f16_e32 v67, v61, v67
	v_add_f16_e32 v61, v93, v92
	v_fmac_f16_e32 v59, 0x3b9c, v68
	v_fmamk_f16 v92, v69, 0x3b9c, v2
	v_sub_f16_e32 v93, v51, v47
	v_sub_f16_e32 v94, v50, v55
	v_add_f16_e32 v96, v57, v5
	v_add_f16_e32 v97, v54, v56
	v_fmac_f16_e32 v2, 0xbb9c, v69
	v_add_f16_e32 v48, v50, v48
	v_fmac_f16_e32 v66, 0xb8b4, v69
	v_fmac_f16_e32 v59, 0x38b4, v69
	;; [unrolled: 1-line block ×3, first 2 shown]
	v_add_f16_e32 v93, v94, v93
	v_add_f16_e32 v69, v56, v96
	v_fma_f16 v94, -0.5, v97, v5
	v_sub_f16_e32 v47, v47, v55
	v_fmac_f16_e32 v2, 0x38b4, v68
	v_add_f16_e32 v68, v53, v57
	v_add_f16_e32 v48, v55, v48
	v_fmac_f16_e32 v66, 0x34f2, v61
	v_fmac_f16_e32 v59, 0x34f2, v61
	v_add_f16_e32 v55, v54, v69
	v_fmamk_f16 v61, v47, 0x3b9c, v94
	v_sub_f16_e32 v50, v51, v50
	v_sub_f16_e32 v51, v57, v56
	;; [unrolled: 1-line block ×3, first 2 shown]
	v_fmac_f16_e32 v5, -0.5, v68
	v_fmac_f16_e32 v94, 0xbb9c, v47
	v_add_f16_e32 v55, v53, v55
	v_fmac_f16_e32 v61, 0x38b4, v50
	v_add_f16_e32 v51, v69, v51
	v_fmamk_f16 v68, v50, 0xbb9c, v5
	v_sub_f16_e32 v56, v56, v57
	v_sub_f16_e32 v53, v54, v53
	v_add_f16_e32 v54, v4, v3
	v_fmac_f16_e32 v94, 0xb8b4, v50
	v_fmac_f16_e32 v5, 0x3b9c, v50
	;; [unrolled: 1-line block ×4, first 2 shown]
	v_add_f16_e32 v53, v53, v56
	v_add_f16_e32 v50, v12, v54
	;; [unrolled: 1-line block ×3, first 2 shown]
	v_fmac_f16_e32 v94, 0x34f2, v51
	v_fmac_f16_e32 v5, 0xb8b4, v47
	v_add_f16_e32 v51, v11, v4
	v_fmac_f16_e32 v68, 0x34f2, v53
	v_add_f16_e32 v47, v9, v50
	v_fma_f16 v50, -0.5, v54, v3
	v_sub_f16_e32 v54, v46, v7
	v_fmac_f16_e32 v5, 0x34f2, v53
	v_sub_f16_e32 v53, v13, v10
	v_fmac_f16_e32 v3, -0.5, v51
	v_fmac_f16_e32 v92, 0x34f2, v93
	v_fmamk_f16 v51, v54, 0xbb9c, v50
	v_fmac_f16_e32 v50, 0x3b9c, v54
	v_fmac_f16_e32 v2, 0x34f2, v93
	v_fmamk_f16 v69, v53, 0x3b9c, v3
	v_fmac_f16_e32 v3, 0xbb9c, v53
	v_sub_f16_e32 v56, v4, v12
	v_sub_f16_e32 v57, v11, v9
	;; [unrolled: 1-line block ×4, first 2 shown]
	v_fmac_f16_e32 v51, 0xb8b4, v53
	v_fmac_f16_e32 v50, 0x38b4, v53
	;; [unrolled: 1-line block ×3, first 2 shown]
	v_add_f16_e32 v53, v10, v13
	v_fmac_f16_e32 v3, 0x38b4, v54
	v_add_f16_e32 v54, v7, v46
	v_add_f16_e32 v47, v11, v47
	;; [unrolled: 1-line block ×4, first 2 shown]
	v_fma_f16 v53, -0.5, v53, v6
	v_sub_f16_e32 v4, v4, v11
	v_add_f16_e32 v11, v46, v6
	v_sub_f16_e32 v9, v12, v9
	v_fmac_f16_e32 v6, -0.5, v54
	v_fmac_f16_e32 v69, 0x34f2, v57
	v_fmac_f16_e32 v3, 0x34f2, v57
	v_sub_f16_e32 v54, v46, v13
	v_sub_f16_e32 v46, v13, v46
	v_fmamk_f16 v57, v9, 0xbb9c, v6
	v_sub_f16_e32 v93, v10, v7
	v_fmac_f16_e32 v6, 0x3b9c, v9
	v_fmac_f16_e32 v51, 0x34f2, v56
	;; [unrolled: 1-line block ×3, first 2 shown]
	v_fmamk_f16 v12, v4, 0x3b9c, v53
	v_sub_f16_e32 v56, v7, v10
	v_add_f16_e32 v46, v93, v46
	v_fmac_f16_e32 v6, 0xb8b4, v4
	v_fmac_f16_e32 v53, 0xbb9c, v4
	;; [unrolled: 1-line block ×3, first 2 shown]
	v_add_f16_e32 v54, v56, v54
	v_fmac_f16_e32 v57, 0x38b4, v4
	v_fmac_f16_e32 v6, 0x34f2, v46
	v_add_f16_e32 v4, v13, v11
	v_fmac_f16_e32 v53, 0xb8b4, v9
	v_fmac_f16_e32 v12, 0x34f2, v54
	;; [unrolled: 1-line block ×3, first 2 shown]
	v_mul_f16_e32 v11, 0xbb9c, v6
	v_mul_f16_e32 v6, 0xb4f2, v6
	v_add_f16_e32 v4, v10, v4
	v_mul_f16_e32 v9, 0xb8b4, v12
	v_fmac_f16_e32 v53, 0x34f2, v54
	v_fmac_f16_e32 v11, 0xb4f2, v3
	v_mul_f16_e32 v46, 0x38b4, v51
	v_fmac_f16_e32 v6, 0x3b9c, v3
	v_fmac_f16_e32 v9, 0x3a79, v51
	v_mul_f16_e32 v51, 0x3b9c, v69
	v_add_f16_e32 v93, v2, v11
	v_sub_f16_e32 v2, v2, v11
	v_mul_u32_u24_e32 v11, 10, v34
	v_mul_f16_e32 v10, 0xbb9c, v57
	v_add_f16_e32 v4, v7, v4
	v_mul_f16_e32 v7, 0xb8b4, v53
	v_mul_f16_e32 v53, 0xba79, v53
	v_fmac_f16_e32 v51, 0x34f2, v57
	v_fmac_f16_e32 v46, 0x3a79, v12
	v_add_f16_e32 v109, v5, v6
	v_sub_f16_e32 v113, v5, v6
	v_lshl_add_u32 v5, v11, 1, 0
	v_mul_i32_i24_e32 v11, 10, v38
	v_fmac_f16_e32 v10, 0x34f2, v69
	v_add_f16_e32 v13, v47, v48
	v_sub_f16_e32 v12, v48, v47
	v_pack_b32_f16 v6, v63, v83
	v_pack_b32_f16 v47, v60, v62
	v_fmac_f16_e32 v7, 0xba79, v50
	v_fmac_f16_e32 v53, 0x38b4, v50
	v_pack_b32_f16 v48, v86, v87
	v_pack_b32_f16 v50, v84, v85
	v_add_f16_e32 v108, v68, v51
	v_sub_f16_e32 v112, v68, v51
	v_pack_b32_f16 v51, v52, v88
	v_add_f16_e32 v107, v61, v46
	v_sub_f16_e32 v111, v61, v46
	v_lshl_add_u32 v46, v11, 1, 0
	v_pack_b32_f16 v11, v90, v91
	v_pack_b32_f16 v52, v70, v80
	v_add_f16_e32 v54, v66, v9
	v_add_f16_e32 v56, v92, v10
	ds_write2_b32 v5, v47, v6 offset1:1
	ds_write2_b32 v5, v50, v48 offset0:2 offset1:3
	ds_write_b32 v5, v51 offset:16
	v_mul_i32_i24_e32 v6, 10, v37
	v_add_f16_e32 v69, v59, v7
	v_sub_f16_e32 v9, v66, v9
	v_sub_f16_e32 v10, v92, v10
	;; [unrolled: 1-line block ×3, first 2 shown]
	ds_write2_b32 v46, v52, v11 offset1:1
	v_pack_b32_f16 v11, v49, v64
	v_pack_b32_f16 v14, v100, v14
	;; [unrolled: 1-line block ×3, first 2 shown]
	v_lshl_add_u32 v47, v6, 1, 0
	v_pack_b32_f16 v6, v56, v93
	v_pack_b32_f16 v13, v13, v54
	;; [unrolled: 1-line block ×5, first 2 shown]
	ds_write2_b32 v46, v14, v11 offset0:2 offset1:3
	ds_write_b32 v46, v8 offset:16
	ds_write2_b32 v47, v13, v6 offset1:1
	ds_write2_b32 v47, v10, v9 offset0:2 offset1:3
	ds_write_b32 v47, v2 offset:16
	v_mad_i32_i24 v48, 0xffffffee, v34, v5
	v_pack_b32_f16 v2, v75, v76
	v_pack_b32_f16 v6, v72, v73
	;; [unrolled: 1-line block ×4, first 2 shown]
	v_lshl_add_u32 v51, v41, 1, 0
	v_mad_i32_i24 v56, 0xffffffee, v37, v47
	v_add_f16_e32 v106, v101, v89
	v_sub_f16_e32 v89, v101, v89
	v_add_f16_e32 v3, v4, v55
	v_add_f16_e32 v110, v94, v53
	v_sub_f16_e32 v4, v55, v4
	v_sub_f16_e32 v114, v94, v53
	s_waitcnt lgkmcnt(0)
	s_barrier
	buffer_gl0_inv
	v_mad_i32_i24 v57, 0xffffffee, v38, v46
	v_lshl_add_u32 v49, v39, 1, 0
	v_lshl_add_u32 v50, v40, 1, 0
	ds_read_u16 v92, v48 offset:3564
	ds_read_u16 v85, v48 offset:3726
	;; [unrolled: 1-line block ×3, first 2 shown]
	ds_read_u16 v9, v51
	v_lshl_add_u32 v52, v42, 1, 0
	v_lshl_add_u32 v53, v43, 1, 0
	;; [unrolled: 1-line block ×3, first 2 shown]
	ds_read_u16 v14, v48
	ds_read_u16 v99, v48 offset:1620
	ds_read_u16 v96, v48 offset:1782
	;; [unrolled: 1-line block ×7, first 2 shown]
	ds_read_u16 v11, v52
	ds_read_u16 v8, v53
	;; [unrolled: 1-line block ×3, first 2 shown]
	ds_read_u16 v65, v48 offset:2754
	ds_read_u16 v59, v48 offset:2916
	v_lshl_add_u32 v55, v45, 1, 0
	ds_read_u16 v70, v48 offset:4050
	ds_read_u16 v69, v48 offset:4212
	;; [unrolled: 1-line block ×4, first 2 shown]
	ds_read_u16 v60, v56
	ds_read_u16 v61, v57
	;; [unrolled: 1-line block ×3, first 2 shown]
	ds_read_u16 v100, v48 offset:3402
	ds_read_u16 v101, v48 offset:3240
	;; [unrolled: 1-line block ×3, first 2 shown]
	ds_read_u16 v12, v50
	ds_read_u16 v13, v49
	ds_read_u16 v64, v48 offset:4698
	s_waitcnt lgkmcnt(0)
	s_barrier
	buffer_gl0_inv
	ds_write2_b32 v5, v6, v2 offset1:1
	ds_write2_b32 v5, v73, v72 offset0:2 offset1:3
	v_pack_b32_f16 v2, v58, v71
	v_mov_b32_e32 v88, 0xcccd
	v_pack_b32_f16 v58, v104, v105
	v_pack_b32_f16 v71, v102, v103
	v_and_b32_e32 v6, 0xff, v34
	v_pack_b32_f16 v72, v81, v95
	v_pack_b32_f16 v74, v106, v82
	ds_write_b32 v5, v2 offset:16
	ds_write2_b32 v46, v71, v58 offset1:1
	v_and_b32_e32 v5, 0xff, v38
	v_mul_u32_u24_sdwa v83, v43, v88 dst_sel:DWORD dst_unused:UNUSED_PAD src0_sel:WORD_0 src1_sel:DWORD
	v_pack_b32_f16 v75, v67, v89
	v_mul_lo_u16 v73, 0xcd, v6
	ds_write2_b32 v46, v74, v72 offset0:2 offset1:3
	ds_write_b32 v46, v75 offset:16
	v_mul_lo_u16 v72, 0xcd, v5
	v_lshrrev_b32_e32 v83, 19, v83
	v_mul_u32_u24_sdwa v87, v44, v88 dst_sel:DWORD dst_unused:UNUSED_PAD src0_sel:WORD_0 src1_sel:DWORD
	v_lshrrev_b16 v67, 11, v73
	v_pack_b32_f16 v2, v108, v109
	v_pack_b32_f16 v3, v3, v107
	;; [unrolled: 1-line block ×4, first 2 shown]
	v_and_b32_e32 v4, 0xff, v37
	v_lshrrev_b16 v72, 11, v72
	v_mul_lo_u16 v89, v83, 10
	v_lshrrev_b32_e32 v87, 19, v87
	v_mul_lo_u16 v58, v67, 10
	ds_write2_b32 v47, v3, v2 offset1:1
	ds_write2_b32 v47, v74, v73 offset0:2 offset1:3
	v_mul_lo_u16 v2, 0xcd, v4
	v_mul_lo_u16 v74, v72, 10
	v_sub_nc_u16 v91, v43, v89
	v_mul_lo_u16 v89, v87, 10
	v_sub_nc_u16 v71, v34, v58
	v_mov_b32_e32 v58, 3
	v_lshrrev_b16 v73, 11, v2
	v_sub_nc_u16 v77, v38, v74
	v_mul_u32_u24_sdwa v2, v39, v88 dst_sel:DWORD dst_unused:UNUSED_PAD src0_sel:WORD_0 src1_sel:DWORD
	v_sub_nc_u16 v89, v44, v89
	v_pack_b32_f16 v75, v113, v114
	v_lshlrev_b32_sdwa v3, v58, v71 dst_sel:DWORD dst_unused:UNUSED_PAD src0_sel:DWORD src1_sel:BYTE_0
	v_mov_b32_e32 v141, 60
	v_lshrrev_b32_e32 v74, 19, v2
	v_lshlrev_b32_sdwa v2, v58, v77 dst_sel:DWORD dst_unused:UNUSED_PAD src0_sel:DWORD src1_sel:BYTE_0
	v_lshlrev_b32_sdwa v95, v58, v89 dst_sel:DWORD dst_unused:UNUSED_PAD src0_sel:DWORD src1_sel:WORD_0
	ds_write_b32 v47, v75 offset:16
	s_waitcnt lgkmcnt(0)
	s_barrier
	buffer_gl0_inv
	s_clause 0x2
	global_load_dwordx2 v[102:103], v3, s[8:9]
	global_load_dwordx2 v[124:125], v95, s[8:9]
	;; [unrolled: 1-line block ×3, first 2 shown]
	v_mul_u32_u24_sdwa v3, v40, v88 dst_sel:DWORD dst_unused:UNUSED_PAD src0_sel:WORD_0 src1_sel:DWORD
	v_mul_lo_u16 v75, v73, 10
	v_mul_lo_u16 v78, v74, 10
	v_mul_u32_u24_sdwa v67, v67, v141 dst_sel:DWORD dst_unused:UNUSED_PAD src0_sel:WORD_0 src1_sel:DWORD
	v_mul_u32_u24_sdwa v72, v72, v141 dst_sel:DWORD dst_unused:UNUSED_PAD src0_sel:WORD_0 src1_sel:DWORD
	v_lshrrev_b32_e32 v76, 19, v3
	v_sub_nc_u16 v75, v37, v75
	v_sub_nc_u16 v78, v39, v78
	v_mul_lo_u16 v6, 0x89, v6
	v_cmp_gt_u32_e64 s0, 9, v34
	v_mul_lo_u16 v3, v76, 10
	v_lshlrev_b32_sdwa v2, v58, v75 dst_sel:DWORD dst_unused:UNUSED_PAD src0_sel:DWORD src1_sel:BYTE_0
	v_lshlrev_b32_sdwa v81, v58, v78 dst_sel:DWORD dst_unused:UNUSED_PAD src0_sel:DWORD src1_sel:WORD_0
	v_lshrrev_b16 v6, 12, v6
	v_sub_nc_u16 v80, v40, v3
	s_clause 0x1
	global_load_dwordx2 v[106:107], v2, s[8:9]
	global_load_dwordx2 v[116:117], v81, s[8:9]
	v_lshlrev_b32_sdwa v3, v58, v80 dst_sel:DWORD dst_unused:UNUSED_PAD src0_sel:DWORD src1_sel:WORD_0
	global_load_dwordx2 v[118:119], v3, s[8:9]
	v_mul_u32_u24_sdwa v2, v41, v88 dst_sel:DWORD dst_unused:UNUSED_PAD src0_sel:WORD_0 src1_sel:DWORD
	v_lshrrev_b32_e32 v79, 19, v2
	v_mul_lo_u16 v2, v79, 10
	v_sub_nc_u16 v82, v41, v2
	v_lshlrev_b32_sdwa v2, v58, v82 dst_sel:DWORD dst_unused:UNUSED_PAD src0_sel:DWORD src1_sel:WORD_0
	global_load_dwordx2 v[2:3], v2, s[8:9]
	v_mul_u32_u24_sdwa v81, v42, v88 dst_sel:DWORD dst_unused:UNUSED_PAD src0_sel:WORD_0 src1_sel:DWORD
	v_mul_u32_u24_sdwa v88, v45, v88 dst_sel:DWORD dst_unused:UNUSED_PAD src0_sel:WORD_0 src1_sel:DWORD
	v_lshrrev_b32_e32 v81, 19, v81
	v_lshrrev_b32_e32 v88, 19, v88
	v_mul_lo_u16 v86, v81, 10
	v_sub_nc_u16 v86, v42, v86
	v_lshlrev_b32_sdwa v90, v58, v86 dst_sel:DWORD dst_unused:UNUSED_PAD src0_sel:DWORD src1_sel:WORD_0
	global_load_dwordx2 v[120:121], v90, s[8:9]
	v_lshlrev_b32_sdwa v90, v58, v91 dst_sel:DWORD dst_unused:UNUSED_PAD src0_sel:DWORD src1_sel:WORD_0
	global_load_dwordx2 v[122:123], v90, s[8:9]
	v_mul_lo_u16 v90, v88, 10
	v_sub_nc_u16 v90, v45, v90
	v_lshlrev_b32_sdwa v95, v58, v90 dst_sel:DWORD dst_unused:UNUSED_PAD src0_sel:DWORD src1_sel:WORD_0
	global_load_dwordx2 v[126:127], v95, s[8:9]
	ds_read_u16 v108, v48 offset:1620
	ds_read_u16 v109, v48 offset:3240
	;; [unrolled: 1-line block ×12, first 2 shown]
	ds_read_u16 v95, v48
	ds_read_u16 v136, v48 offset:3078
	s_waitcnt vmcnt(9) lgkmcnt(13)
	v_mul_f16_sdwa v135, v108, v102 dst_sel:DWORD dst_unused:UNUSED_PAD src0_sel:DWORD src1_sel:WORD_1
	v_mul_f16_sdwa v111, v99, v102 dst_sel:DWORD dst_unused:UNUSED_PAD src0_sel:DWORD src1_sel:WORD_1
	s_waitcnt lgkmcnt(12)
	v_mul_f16_sdwa v137, v109, v103 dst_sel:DWORD dst_unused:UNUSED_PAD src0_sel:DWORD src1_sel:WORD_1
	v_mul_f16_sdwa v113, v101, v103 dst_sel:DWORD dst_unused:UNUSED_PAD src0_sel:DWORD src1_sel:WORD_1
	v_fmac_f16_e32 v135, v99, v102
	v_fma_f16 v99, v108, v102, -v111
	s_waitcnt vmcnt(7) lgkmcnt(10)
	v_mul_f16_sdwa v111, v112, v105 dst_sel:DWORD dst_unused:UNUSED_PAD src0_sel:DWORD src1_sel:WORD_1
	v_mul_f16_sdwa v108, v110, v104 dst_sel:DWORD dst_unused:UNUSED_PAD src0_sel:DWORD src1_sel:WORD_1
	v_fmac_f16_e32 v137, v101, v103
	v_fma_f16 v101, v109, v103, -v113
	v_mul_f16_sdwa v103, v100, v105 dst_sel:DWORD dst_unused:UNUSED_PAD src0_sel:DWORD src1_sel:WORD_1
	v_fmac_f16_e32 v111, v100, v105
	v_mul_f16_sdwa v102, v96, v104 dst_sel:DWORD dst_unused:UNUSED_PAD src0_sel:DWORD src1_sel:WORD_1
	v_fmac_f16_e32 v108, v96, v104
	v_fma_f16 v113, v112, v105, -v103
	v_fma_f16 v115, v110, v104, -v102
	s_waitcnt vmcnt(6)
	v_mul_f16_sdwa v100, v98, v106 dst_sel:DWORD dst_unused:UNUSED_PAD src0_sel:DWORD src1_sel:WORD_1
	s_waitcnt lgkmcnt(6)
	v_mul_f16_sdwa v96, v130, v106 dst_sel:DWORD dst_unused:UNUSED_PAD src0_sel:DWORD src1_sel:WORD_1
	v_mul_f16_sdwa v104, v114, v107 dst_sel:DWORD dst_unused:UNUSED_PAD src0_sel:DWORD src1_sel:WORD_1
	s_waitcnt vmcnt(5) lgkmcnt(5)
	v_mul_f16_sdwa v102, v131, v116 dst_sel:DWORD dst_unused:UNUSED_PAD src0_sel:DWORD src1_sel:WORD_1
	v_mul_f16_sdwa v110, v128, v117 dst_sel:DWORD dst_unused:UNUSED_PAD src0_sel:DWORD src1_sel:WORD_1
	v_fma_f16 v109, v130, v106, -v100
	v_mul_f16_sdwa v100, v93, v116 dst_sel:DWORD dst_unused:UNUSED_PAD src0_sel:DWORD src1_sel:WORD_1
	v_fmac_f16_e32 v96, v98, v106
	v_mul_f16_sdwa v98, v92, v107 dst_sel:DWORD dst_unused:UNUSED_PAD src0_sel:DWORD src1_sel:WORD_1
	v_fmac_f16_e32 v104, v92, v107
	v_fmac_f16_e32 v102, v93, v116
	v_fma_f16 v112, v131, v116, -v100
	ds_read_u16 v116, v48 offset:4050
	s_waitcnt vmcnt(4)
	v_mul_f16_sdwa v100, v129, v119 dst_sel:DWORD dst_unused:UNUSED_PAD src0_sel:DWORD src1_sel:WORD_1
	v_fma_f16 v106, v114, v107, -v98
	v_mul_f16_sdwa v92, v85, v117 dst_sel:DWORD dst_unused:UNUSED_PAD src0_sel:DWORD src1_sel:WORD_1
	s_waitcnt lgkmcnt(5)
	v_mul_f16_sdwa v93, v132, v118 dst_sel:DWORD dst_unused:UNUSED_PAD src0_sel:DWORD src1_sel:WORD_1
	v_mul_f16_sdwa v98, v97, v118 dst_sel:DWORD dst_unused:UNUSED_PAD src0_sel:DWORD src1_sel:WORD_1
	v_fmac_f16_e32 v100, v84, v119
	v_mul_f16_sdwa v84, v84, v119 dst_sel:DWORD dst_unused:UNUSED_PAD src0_sel:DWORD src1_sel:WORD_1
	v_fmac_f16_e32 v110, v85, v117
	v_fma_f16 v114, v128, v117, -v92
	v_fmac_f16_e32 v93, v97, v118
	v_fma_f16 v105, v132, v118, -v98
	ds_read_u16 v97, v48 offset:4212
	ds_read_u16 v98, v48 offset:2754
	;; [unrolled: 1-line block ×3, first 2 shown]
	v_fma_f16 v107, v129, v119, -v84
	s_waitcnt vmcnt(3) lgkmcnt(7)
	v_mul_f16_sdwa v103, v133, v2 dst_sel:DWORD dst_unused:UNUSED_PAD src0_sel:DWORD src1_sel:WORD_1
	v_mul_f16_sdwa v92, v94, v2 dst_sel:DWORD dst_unused:UNUSED_PAD src0_sel:DWORD src1_sel:WORD_1
	s_waitcnt lgkmcnt(3)
	v_mul_f16_sdwa v129, v116, v3 dst_sel:DWORD dst_unused:UNUSED_PAD src0_sel:DWORD src1_sel:WORD_1
	v_mul_f16_sdwa v130, v70, v3 dst_sel:DWORD dst_unused:UNUSED_PAD src0_sel:DWORD src1_sel:WORD_1
	v_fmac_f16_e32 v103, v94, v2
	ds_read_u16 v84, v51
	ds_read_u16 v94, v48 offset:2916
	ds_read_u16 v118, v48 offset:4536
	;; [unrolled: 1-line block ×3, first 2 shown]
	ds_read_u16 v85, v50
	ds_read_u16 v128, v49
	v_fma_f16 v2, v133, v2, -v92
	v_fmac_f16_e32 v129, v70, v3
	v_fma_f16 v3, v116, v3, -v130
	s_waitcnt lgkmcnt(4)
	v_mul_f16_sdwa v133, v94, v124 dst_sel:DWORD dst_unused:UNUSED_PAD src0_sel:DWORD src1_sel:WORD_1
	s_waitcnt vmcnt(2)
	v_mul_f16_sdwa v132, v68, v120 dst_sel:DWORD dst_unused:UNUSED_PAD src0_sel:DWORD src1_sel:WORD_1
	v_mul_f16_sdwa v131, v134, v120 dst_sel:DWORD dst_unused:UNUSED_PAD src0_sel:DWORD src1_sel:WORD_1
	v_fmac_f16_e32 v133, v59, v124
	v_fma_f16 v116, v134, v120, -v132
	s_waitcnt vmcnt(1)
	v_mul_f16_sdwa v130, v98, v122 dst_sel:DWORD dst_unused:UNUSED_PAD src0_sel:DWORD src1_sel:WORD_1
	v_mul_f16_sdwa v132, v117, v123 dst_sel:DWORD dst_unused:UNUSED_PAD src0_sel:DWORD src1_sel:WORD_1
	v_mul_f16_sdwa v70, v65, v122 dst_sel:DWORD dst_unused:UNUSED_PAD src0_sel:DWORD src1_sel:WORD_1
	s_waitcnt lgkmcnt(3)
	v_mul_f16_sdwa v134, v118, v125 dst_sel:DWORD dst_unused:UNUSED_PAD src0_sel:DWORD src1_sel:WORD_1
	v_fmac_f16_e32 v131, v68, v120
	v_fmac_f16_e32 v130, v65, v122
	v_mul_f16_sdwa v65, v66, v123 dst_sel:DWORD dst_unused:UNUSED_PAD src0_sel:DWORD src1_sel:WORD_1
	v_fmac_f16_e32 v132, v66, v123
	v_mul_f16_sdwa v66, v59, v124 dst_sel:DWORD dst_unused:UNUSED_PAD src0_sel:DWORD src1_sel:WORD_1
	v_mul_f16_sdwa v59, v62, v125 dst_sel:DWORD dst_unused:UNUSED_PAD src0_sel:DWORD src1_sel:WORD_1
	v_fmac_f16_e32 v134, v62, v125
	v_fma_f16 v117, v117, v123, -v65
	v_mul_f16_sdwa v120, v97, v121 dst_sel:DWORD dst_unused:UNUSED_PAD src0_sel:DWORD src1_sel:WORD_1
	v_fma_f16 v123, v94, v124, -v66
	v_fma_f16 v118, v118, v125, -v59
	v_mul_f16_sdwa v68, v69, v121 dst_sel:DWORD dst_unused:UNUSED_PAD src0_sel:DWORD src1_sel:WORD_1
	s_waitcnt vmcnt(0)
	v_mul_f16_sdwa v124, v136, v126 dst_sel:DWORD dst_unused:UNUSED_PAD src0_sel:DWORD src1_sel:WORD_1
	v_mul_f16_sdwa v62, v63, v126 dst_sel:DWORD dst_unused:UNUSED_PAD src0_sel:DWORD src1_sel:WORD_1
	;; [unrolled: 1-line block ×3, first 2 shown]
	s_waitcnt lgkmcnt(2)
	v_mul_f16_sdwa v125, v119, v127 dst_sel:DWORD dst_unused:UNUSED_PAD src0_sel:DWORD src1_sel:WORD_1
	v_sub_f16_e32 v65, v135, v137
	v_fmac_f16_e32 v124, v63, v126
	v_fma_f16 v126, v136, v126, -v62
	v_add_f16_e32 v62, v135, v137
	v_fma_f16 v119, v119, v127, -v59
	v_add_f16_e32 v59, v99, v101
	v_fmac_f16_e32 v125, v64, v127
	v_add_f16_e32 v63, v14, v135
	v_fmac_f16_e32 v14, -0.5, v62
	v_add_f16_e32 v62, v95, v99
	v_sub_f16_e32 v64, v99, v101
	v_fmac_f16_e32 v95, -0.5, v59
	v_add_f16_e32 v59, v108, v111
	v_fmac_f16_e32 v120, v69, v121
	v_fma_f16 v121, v97, v121, -v68
	v_fmamk_f16 v66, v64, 0xbaee, v14
	v_fmac_f16_e32 v14, 0x3aee, v64
	v_add_f16_e32 v64, v61, v108
	v_fmac_f16_e32 v61, -0.5, v59
	v_sub_f16_e32 v59, v115, v113
	v_add_f16_e32 v127, v62, v101
	v_fmamk_f16 v135, v65, 0x3aee, v95
	v_add_f16_e32 v62, v96, v104
	v_fmac_f16_e32 v95, 0xbaee, v65
	v_fmamk_f16 v65, v59, 0xbaee, v61
	v_add_f16_e32 v68, v102, v110
	v_fmac_f16_e32 v61, 0x3aee, v59
	v_add_f16_e32 v59, v93, v100
	v_fma_f16 v122, v98, v122, -v70
	v_add_f16_e32 v69, v60, v96
	v_fmac_f16_e32 v60, -0.5, v62
	v_sub_f16_e32 v62, v109, v106
	v_add_f16_e32 v70, v13, v102
	v_fmac_f16_e32 v13, -0.5, v68
	v_sub_f16_e32 v68, v112, v114
	;; [unrolled: 3-line block ×3, first 2 shown]
	v_fmamk_f16 v92, v62, 0xbaee, v60
	v_fmac_f16_e32 v60, 0x3aee, v62
	v_fmamk_f16 v62, v68, 0xbaee, v13
	v_add_f16_e32 v94, v103, v129
	v_fmac_f16_e32 v13, 0x3aee, v68
	v_fmamk_f16 v68, v59, 0xbaee, v12
	v_add_f16_e32 v99, v131, v120
	v_fmac_f16_e32 v12, 0x3aee, v59
	v_add_f16_e32 v59, v130, v132
	v_add_f16_e32 v63, v63, v137
	;; [unrolled: 1-line block ×3, first 2 shown]
	v_fmac_f16_e32 v9, -0.5, v94
	v_sub_f16_e32 v94, v2, v3
	v_add_f16_e32 v136, v11, v131
	v_fmac_f16_e32 v11, -0.5, v99
	v_sub_f16_e32 v99, v116, v121
	v_add_f16_e32 v137, v8, v130
	v_fmac_f16_e32 v8, -0.5, v59
	v_sub_f16_e32 v59, v122, v117
	v_fmamk_f16 v101, v94, 0xbaee, v9
	v_fmac_f16_e32 v9, 0x3aee, v94
	v_fmamk_f16 v94, v99, 0xbaee, v11
	v_add_f16_e32 v138, v133, v134
	v_fmac_f16_e32 v11, 0x3aee, v99
	v_fmamk_f16 v99, v59, 0xbaee, v8
	v_fmac_f16_e32 v8, 0x3aee, v59
	v_mov_b32_e32 v59, 1
	v_add_f16_e32 v139, v7, v133
	v_fmac_f16_e32 v7, -0.5, v138
	v_add_f16_e32 v138, v124, v125
	v_sub_f16_e32 v140, v123, v118
	v_lshlrev_b32_sdwa v71, v59, v71 dst_sel:DWORD dst_unused:UNUSED_PAD src0_sel:DWORD src1_sel:BYTE_0
	v_add_f16_e32 v142, v10, v124
	v_sub_f16_e32 v93, v93, v100
	v_fmac_f16_e32 v10, -0.5, v138
	v_sub_f16_e32 v138, v126, v119
	v_add3_u32 v71, 0, v67, v71
	v_lshlrev_b32_sdwa v67, v59, v77 dst_sel:DWORD dst_unused:UNUSED_PAD src0_sel:DWORD src1_sel:BYTE_0
	v_fmamk_f16 v143, v140, 0xbaee, v7
	v_fmac_f16_e32 v7, 0x3aee, v140
	v_fmamk_f16 v140, v138, 0xbaee, v10
	v_fmac_f16_e32 v10, 0x3aee, v138
	ds_read_u16 v138, v52
	ds_read_u16 v144, v53
	;; [unrolled: 1-line block ×6, first 2 shown]
	s_waitcnt lgkmcnt(0)
	s_barrier
	buffer_gl0_inv
	ds_write_b16 v71, v63
	ds_write_b16 v71, v66 offset:20
	v_add3_u32 v72, 0, v72, v67
	v_add_f16_e32 v63, v64, v111
	v_mul_u32_u24_sdwa v64, v73, v141 dst_sel:DWORD dst_unused:UNUSED_PAD src0_sel:WORD_0 src1_sel:DWORD
	v_lshlrev_b32_sdwa v66, v59, v75 dst_sel:DWORD dst_unused:UNUSED_PAD src0_sel:DWORD src1_sel:BYTE_0
	ds_write_b16 v71, v14 offset:40
	v_lshlrev_b32_sdwa v14, v59, v78 dst_sel:DWORD dst_unused:UNUSED_PAD src0_sel:DWORD src1_sel:WORD_0
	v_mul_u32_u24_e32 v67, 60, v74
	ds_write_b16 v72, v63
	v_add3_u32 v73, 0, v64, v66
	v_add_f16_e32 v63, v69, v104
	ds_write_b16 v72, v65 offset:20
	v_add3_u32 v74, 0, v67, v14
	v_add_f16_e32 v14, v70, v110
	ds_write_b16 v72, v61 offset:40
	ds_write_b16 v73, v63
	ds_write_b16 v73, v92 offset:20
	ds_write_b16 v73, v60 offset:40
	ds_write_b16 v74, v14
	v_lshlrev_b32_sdwa v14, v59, v80 dst_sel:DWORD dst_unused:UNUSED_PAD src0_sel:DWORD src1_sel:WORD_0
	v_mul_u32_u24_e32 v60, 60, v76
	v_lshlrev_b32_sdwa v61, v59, v82 dst_sel:DWORD dst_unused:UNUSED_PAD src0_sel:DWORD src1_sel:WORD_0
	v_mul_u32_u24_e32 v63, 60, v79
	ds_write_b16 v74, v62 offset:20
	ds_write_b16 v74, v13 offset:40
	v_add_f16_e32 v13, v97, v100
	v_add3_u32 v75, 0, v60, v14
	v_lshlrev_b32_sdwa v60, v59, v86 dst_sel:DWORD dst_unused:UNUSED_PAD src0_sel:DWORD src1_sel:WORD_0
	v_add3_u32 v76, 0, v63, v61
	v_mul_u32_u24_e32 v61, 60, v81
	v_add_f16_e32 v14, v98, v129
	ds_write_b16 v75, v13
	ds_write_b16 v75, v68 offset:20
	ds_write_b16 v75, v12 offset:40
	ds_write_b16 v76, v14
	v_lshlrev_b32_sdwa v13, v59, v91 dst_sel:DWORD dst_unused:UNUSED_PAD src0_sel:DWORD src1_sel:WORD_0
	v_mul_u32_u24_e32 v14, 60, v83
	v_add_f16_e32 v81, v115, v113
	v_add3_u32 v77, 0, v61, v60
	v_add_f16_e32 v12, v136, v120
	ds_write_b16 v76, v101 offset:20
	ds_write_b16 v76, v9 offset:40
	ds_write_b16 v77, v12
	ds_write_b16 v77, v94 offset:20
	v_add3_u32 v78, 0, v14, v13
	v_add_f16_e32 v9, v137, v132
	v_lshlrev_b32_sdwa v12, v59, v89 dst_sel:DWORD dst_unused:UNUSED_PAD src0_sel:DWORD src1_sel:WORD_0
	v_mul_u32_u24_e32 v13, 60, v87
	v_add_f16_e32 v82, v147, v115
	v_fmac_f16_e32 v147, -0.5, v81
	v_sub_f16_e32 v81, v108, v111
	ds_write_b16 v77, v11 offset:40
	v_lshlrev_b32_sdwa v11, v59, v90 dst_sel:DWORD dst_unused:UNUSED_PAD src0_sel:DWORD src1_sel:WORD_0
	v_mul_u32_u24_e32 v14, 60, v88
	ds_write_b16 v78, v9
	v_add3_u32 v79, 0, v13, v12
	v_add_f16_e32 v9, v139, v134
	v_fmamk_f16 v83, v81, 0x3aee, v147
	v_fmac_f16_e32 v147, 0xbaee, v81
	v_add_f16_e32 v81, v112, v114
	v_add3_u32 v80, 0, v14, v11
	v_add_f16_e32 v11, v142, v125
	ds_write_b16 v78, v99 offset:20
	ds_write_b16 v78, v8 offset:40
	ds_write_b16 v79, v9
	ds_write_b16 v79, v143 offset:20
	ds_write_b16 v79, v7 offset:40
	ds_write_b16 v80, v11
	ds_write_b16 v80, v140 offset:20
	ds_write_b16 v80, v10 offset:40
	s_waitcnt lgkmcnt(0)
	s_barrier
	buffer_gl0_inv
	ds_read_u16 v89, v48 offset:3564
	ds_read_u16 v87, v48 offset:3726
	ds_read_u16 v86, v48 offset:3888
	ds_read_u16 v10, v51
	ds_read_u16 v14, v48
	ds_read_u16 v98, v48 offset:1620
	ds_read_u16 v97, v48 offset:1782
	;; [unrolled: 1-line block ×7, first 2 shown]
	ds_read_u16 v11, v52
	ds_read_u16 v7, v53
	ds_read_u16 v8, v54
	ds_read_u16 v66, v48 offset:2754
	ds_read_u16 v62, v48 offset:2916
	;; [unrolled: 1-line block ×6, first 2 shown]
	ds_read_u16 v13, v56
	ds_read_u16 v61, v57
	;; [unrolled: 1-line block ×3, first 2 shown]
	ds_read_u16 v99, v48 offset:3402
	ds_read_u16 v101, v48 offset:3240
	;; [unrolled: 1-line block ×3, first 2 shown]
	ds_read_u16 v12, v50
	ds_read_u16 v60, v49
	ds_read_u16 v65, v48 offset:4698
	s_waitcnt lgkmcnt(0)
	s_barrier
	buffer_gl0_inv
	ds_write_b16 v71, v127
	ds_write_b16 v71, v135 offset:20
	ds_write_b16 v71, v95 offset:40
	v_add_f16_e32 v71, v82, v113
	v_add_f16_e32 v82, v109, v106
	;; [unrolled: 1-line block ×3, first 2 shown]
	v_fmac_f16_e32 v128, -0.5, v81
	v_sub_f16_e32 v81, v102, v110
	v_add_f16_e32 v91, v146, v109
	v_fmac_f16_e32 v146, -0.5, v82
	v_sub_f16_e32 v82, v96, v104
	v_add_f16_e32 v104, v85, v105
	v_fmamk_f16 v102, v81, 0x3aee, v128
	v_fmac_f16_e32 v128, 0xbaee, v81
	v_add_f16_e32 v81, v2, v3
	v_add_f16_e32 v2, v84, v2
	v_fmamk_f16 v96, v82, 0x3aee, v146
	v_fmac_f16_e32 v146, 0xbaee, v82
	v_add_f16_e32 v82, v95, v114
	v_add_f16_e32 v95, v105, v107
	;; [unrolled: 1-line block ×4, first 2 shown]
	v_fmac_f16_e32 v84, -0.5, v81
	v_sub_f16_e32 v81, v103, v129
	v_fmac_f16_e32 v85, -0.5, v95
	v_add_f16_e32 v103, v138, v116
	v_fmac_f16_e32 v138, -0.5, v3
	v_sub_f16_e32 v3, v131, v120
	v_add_f16_e32 v95, v104, v107
	v_add_f16_e32 v104, v144, v122
	v_fmamk_f16 v100, v93, 0x3aee, v85
	v_fmac_f16_e32 v85, 0xbaee, v93
	v_add_f16_e32 v103, v103, v121
	v_fmamk_f16 v105, v3, 0x3aee, v138
	v_fmamk_f16 v93, v81, 0x3aee, v84
	v_fmac_f16_e32 v138, 0xbaee, v3
	v_add_f16_e32 v91, v91, v106
	v_fmac_f16_e32 v84, 0xbaee, v81
	v_add_f16_e32 v3, v104, v117
	ds_write_b16 v72, v71
	ds_write_b16 v72, v83 offset:20
	ds_write_b16 v72, v147 offset:40
	ds_write_b16 v73, v91
	ds_write_b16 v73, v96 offset:20
	ds_write_b16 v73, v146 offset:40
	;; [unrolled: 3-line block ×6, first 2 shown]
	ds_write_b16 v78, v3
	v_mul_lo_u16 v3, 0x89, v4
	v_add_f16_e32 v81, v122, v117
	v_mov_b32_e32 v84, 0x8889
	v_add_f16_e32 v104, v123, v118
	v_add_f16_e32 v107, v145, v123
	v_lshrrev_b16 v73, 12, v3
	v_fmac_f16_e32 v144, -0.5, v81
	v_sub_f16_e32 v81, v130, v132
	v_mul_u32_u24_sdwa v82, v43, v84 dst_sel:DWORD dst_unused:UNUSED_PAD src0_sel:WORD_0 src1_sel:DWORD
	v_fmac_f16_e32 v145, -0.5, v104
	v_mul_lo_u16 v3, v73, 30
	v_sub_f16_e32 v104, v133, v134
	v_fmamk_f16 v106, v81, 0x3aee, v144
	v_fmac_f16_e32 v144, 0xbaee, v81
	v_add_f16_e32 v81, v126, v119
	v_sub_nc_u16 v74, v37, v3
	v_mul_u32_u24_sdwa v3, v40, v84 dst_sel:DWORD dst_unused:UNUSED_PAD src0_sel:WORD_0 src1_sel:DWORD
	v_lshrrev_b32_e32 v82, 20, v82
	v_add_f16_e32 v108, v148, v126
	v_fmac_f16_e32 v148, -0.5, v81
	v_sub_f16_e32 v81, v124, v125
	v_lshrrev_b32_e32 v75, 20, v3
	v_fmamk_f16 v109, v104, 0x3aee, v145
	v_fmac_f16_e32 v145, 0xbaee, v104
	v_mul_lo_u16 v2, v6, 30
	v_mul_lo_u16 v93, v82, 30
	;; [unrolled: 1-line block ×3, first 2 shown]
	v_add_f16_e32 v104, v108, v119
	v_add_f16_e32 v107, v107, v118
	v_fmamk_f16 v108, v81, 0x3aee, v148
	v_fmac_f16_e32 v148, 0xbaee, v81
	ds_write_b16 v78, v106 offset:20
	ds_write_b16 v78, v144 offset:40
	ds_write_b16 v79, v107
	ds_write_b16 v79, v109 offset:20
	v_sub_nc_u16 v71, v34, v2
	v_mul_lo_u16 v2, 0x89, v5
	ds_write_b16 v79, v145 offset:40
	ds_write_b16 v80, v104
	ds_write_b16 v80, v108 offset:20
	ds_write_b16 v80, v148 offset:40
	v_sub_nc_u16 v79, v40, v3
	v_sub_nc_u16 v96, v43, v93
	s_waitcnt lgkmcnt(0)
	v_lshrrev_b16 v5, 12, v2
	v_lshlrev_b32_sdwa v2, v58, v71 dst_sel:DWORD dst_unused:UNUSED_PAD src0_sel:DWORD src1_sel:BYTE_0
	v_lshlrev_b32_sdwa v3, v58, v79 dst_sel:DWORD dst_unused:UNUSED_PAD src0_sel:DWORD src1_sel:WORD_0
	v_lshlrev_b32_sdwa v100, v58, v96 dst_sel:DWORD dst_unused:UNUSED_PAD src0_sel:DWORD src1_sel:WORD_0
	s_barrier
	v_mul_lo_u16 v72, v5, 30
	buffer_gl0_inv
	s_clause 0x2
	global_load_dwordx2 v[102:103], v2, s[8:9] offset:80
	global_load_dwordx2 v[118:119], v3, s[8:9] offset:80
	;; [unrolled: 1-line block ×3, first 2 shown]
	v_mul_u32_u24_sdwa v2, v39, v84 dst_sel:DWORD dst_unused:UNUSED_PAD src0_sel:WORD_0 src1_sel:DWORD
	v_sub_nc_u16 v76, v38, v72
	v_mul_u32_u24_sdwa v85, v44, v84 dst_sel:DWORD dst_unused:UNUSED_PAD src0_sel:WORD_0 src1_sel:DWORD
	v_mov_b32_e32 v139, 0xb4
	v_lshlrev_b32_sdwa v71, v59, v71 dst_sel:DWORD dst_unused:UNUSED_PAD src0_sel:DWORD src1_sel:BYTE_0
	v_lshrrev_b32_e32 v72, 20, v2
	v_lshlrev_b32_sdwa v2, v58, v76 dst_sel:DWORD dst_unused:UNUSED_PAD src0_sel:DWORD src1_sel:BYTE_0
	v_lshrrev_b32_e32 v91, 20, v85
	v_mul_u32_u24_sdwa v6, v6, v139 dst_sel:DWORD dst_unused:UNUSED_PAD src0_sel:WORD_0 src1_sel:DWORD
	v_mul_u32_u24_sdwa v5, v5, v139 dst_sel:DWORD dst_unused:UNUSED_PAD src0_sel:WORD_0 src1_sel:DWORD
	v_mul_lo_u16 v77, v72, 30
	global_load_dwordx2 v[104:105], v2, s[8:9] offset:80
	v_mul_lo_u16 v93, v91, 30
	v_add3_u32 v6, 0, v6, v71
	v_lshlrev_b32_sdwa v71, v59, v76 dst_sel:DWORD dst_unused:UNUSED_PAD src0_sel:DWORD src1_sel:BYTE_0
	v_sub_nc_u16 v77, v39, v77
	v_add3_u32 v5, 0, v5, v71
	v_lshlrev_b32_sdwa v80, v58, v77 dst_sel:DWORD dst_unused:UNUSED_PAD src0_sel:DWORD src1_sel:WORD_0
	v_lshlrev_b32_sdwa v71, v59, v74 dst_sel:DWORD dst_unused:UNUSED_PAD src0_sel:DWORD src1_sel:BYTE_0
	global_load_dwordx2 v[116:117], v80, s[8:9] offset:80
	v_mul_u32_u24_sdwa v80, v42, v84 dst_sel:DWORD dst_unused:UNUSED_PAD src0_sel:WORD_0 src1_sel:DWORD
	v_lshlrev_b32_sdwa v2, v58, v74 dst_sel:DWORD dst_unused:UNUSED_PAD src0_sel:DWORD src1_sel:BYTE_0
	v_lshrrev_b32_e32 v80, 20, v80
	global_load_dwordx2 v[106:107], v2, s[8:9] offset:80
	v_mul_lo_u16 v83, v80, 30
	v_sub_nc_u16 v83, v42, v83
	v_lshlrev_b32_sdwa v95, v58, v83 dst_sel:DWORD dst_unused:UNUSED_PAD src0_sel:DWORD src1_sel:WORD_0
	global_load_dwordx2 v[120:121], v95, s[8:9] offset:80
	v_mul_u32_u24_sdwa v2, v41, v84 dst_sel:DWORD dst_unused:UNUSED_PAD src0_sel:WORD_0 src1_sel:DWORD
	v_mul_u32_u24_sdwa v84, v45, v84 dst_sel:DWORD dst_unused:UNUSED_PAD src0_sel:WORD_0 src1_sel:DWORD
	v_sub_nc_u16 v95, v44, v93
	v_lshrrev_b32_e32 v78, 20, v2
	v_lshrrev_b32_e32 v85, 20, v84
	v_lshlrev_b32_sdwa v100, v58, v95 dst_sel:DWORD dst_unused:UNUSED_PAD src0_sel:DWORD src1_sel:WORD_0
	v_mul_lo_u16 v2, v78, 30
	v_mul_lo_u16 v84, v85, 30
	global_load_dwordx2 v[124:125], v100, s[8:9] offset:80
	v_sub_nc_u16 v81, v41, v2
	v_sub_nc_u16 v93, v45, v84
	v_lshlrev_b32_sdwa v2, v58, v81 dst_sel:DWORD dst_unused:UNUSED_PAD src0_sel:DWORD src1_sel:WORD_0
	v_lshlrev_b32_sdwa v84, v58, v93 dst_sel:DWORD dst_unused:UNUSED_PAD src0_sel:DWORD src1_sel:WORD_0
	s_clause 0x1
	global_load_dwordx2 v[2:3], v2, s[8:9] offset:80
	global_load_dwordx2 v[126:127], v84, s[8:9] offset:80
	ds_read_u16 v84, v48 offset:1620
	ds_read_u16 v109, v48 offset:3240
	;; [unrolled: 1-line block ×9, first 2 shown]
	ds_read_u16 v100, v48
	ds_read_u16 v132, v48 offset:3564
	ds_read_u16 v133, v48 offset:3726
	;; [unrolled: 1-line block ×4, first 2 shown]
	s_waitcnt vmcnt(9) lgkmcnt(13)
	v_mul_f16_sdwa v131, v84, v102 dst_sel:DWORD dst_unused:UNUSED_PAD src0_sel:DWORD src1_sel:WORD_1
	v_mul_f16_sdwa v108, v98, v102 dst_sel:DWORD dst_unused:UNUSED_PAD src0_sel:DWORD src1_sel:WORD_1
	s_waitcnt lgkmcnt(12)
	v_mul_f16_sdwa v136, v109, v103 dst_sel:DWORD dst_unused:UNUSED_PAD src0_sel:DWORD src1_sel:WORD_1
	v_mul_f16_sdwa v113, v101, v103 dst_sel:DWORD dst_unused:UNUSED_PAD src0_sel:DWORD src1_sel:WORD_1
	v_fmac_f16_e32 v131, v98, v102
	v_fma_f16 v98, v84, v102, -v108
	v_fmac_f16_e32 v136, v101, v103
	v_fma_f16 v137, v109, v103, -v113
	s_waitcnt vmcnt(6) lgkmcnt(11)
	v_mul_f16_sdwa v108, v110, v104 dst_sel:DWORD dst_unused:UNUSED_PAD src0_sel:DWORD src1_sel:WORD_1
	v_mul_f16_sdwa v84, v97, v104 dst_sel:DWORD dst_unused:UNUSED_PAD src0_sel:DWORD src1_sel:WORD_1
	;; [unrolled: 1-line block ×3, first 2 shown]
	s_waitcnt lgkmcnt(10)
	v_mul_f16_sdwa v109, v111, v105 dst_sel:DWORD dst_unused:UNUSED_PAD src0_sel:DWORD src1_sel:WORD_1
	v_fmac_f16_e32 v108, v97, v104
	v_fma_f16 v115, v110, v104, -v84
	v_fma_f16 v113, v111, v105, -v102
	s_waitcnt lgkmcnt(1)
	v_mul_f16_sdwa v102, v134, v119 dst_sel:DWORD dst_unused:UNUSED_PAD src0_sel:DWORD src1_sel:WORD_1
	v_fmac_f16_e32 v109, v99, v105
	v_fmac_f16_e32 v102, v86, v119
	s_waitcnt vmcnt(5)
	v_mul_f16_sdwa v97, v92, v116 dst_sel:DWORD dst_unused:UNUSED_PAD src0_sel:DWORD src1_sel:WORD_1
	v_mul_f16_sdwa v103, v114, v116 dst_sel:DWORD dst_unused:UNUSED_PAD src0_sel:DWORD src1_sel:WORD_1
	;; [unrolled: 1-line block ×3, first 2 shown]
	v_fmac_f16_e32 v103, v92, v116
	ds_read_u16 v92, v48 offset:4050
	s_waitcnt vmcnt(4)
	v_mul_f16_sdwa v84, v94, v106 dst_sel:DWORD dst_unused:UNUSED_PAD src0_sel:DWORD src1_sel:WORD_1
	v_mul_f16_sdwa v101, v112, v106 dst_sel:DWORD dst_unused:UNUSED_PAD src0_sel:DWORD src1_sel:WORD_1
	;; [unrolled: 1-line block ×3, first 2 shown]
	v_fmac_f16_e32 v111, v87, v117
	v_fma_f16 v110, v112, v106, -v84
	v_fma_f16 v112, v114, v116, -v97
	v_mul_f16_sdwa v84, v87, v117 dst_sel:DWORD dst_unused:UNUSED_PAD src0_sel:DWORD src1_sel:WORD_1
	v_mul_f16_sdwa v97, v128, v118 dst_sel:DWORD dst_unused:UNUSED_PAD src0_sel:DWORD src1_sel:WORD_1
	v_fmac_f16_e32 v101, v94, v106
	v_mul_f16_sdwa v94, v89, v107 dst_sel:DWORD dst_unused:UNUSED_PAD src0_sel:DWORD src1_sel:WORD_1
	v_fmac_f16_e32 v104, v89, v107
	v_mul_f16_sdwa v89, v90, v118 dst_sel:DWORD dst_unused:UNUSED_PAD src0_sel:DWORD src1_sel:WORD_1
	v_fma_f16 v114, v133, v117, -v84
	v_fmac_f16_e32 v97, v90, v118
	v_mul_f16_sdwa v84, v86, v119 dst_sel:DWORD dst_unused:UNUSED_PAD src0_sel:DWORD src1_sel:WORD_1
	v_fma_f16 v106, v132, v107, -v94
	v_fma_f16 v105, v128, v118, -v89
	ds_read_u16 v89, v48 offset:4212
	ds_read_u16 v94, v48 offset:2754
	;; [unrolled: 1-line block ×3, first 2 shown]
	v_fma_f16 v107, v134, v119, -v84
	s_waitcnt vmcnt(3)
	v_mul_f16_sdwa v132, v130, v120 dst_sel:DWORD dst_unused:UNUSED_PAD src0_sel:DWORD src1_sel:WORD_1
	v_mul_f16_sdwa v133, v68, v120 dst_sel:DWORD dst_unused:UNUSED_PAD src0_sel:DWORD src1_sel:WORD_1
	v_fmac_f16_e32 v132, v68, v120
	v_fma_f16 v120, v130, v120, -v133
	v_mul_f16_sdwa v68, v69, v121 dst_sel:DWORD dst_unused:UNUSED_PAD src0_sel:DWORD src1_sel:WORD_1
	s_waitcnt lgkmcnt(0)
	v_mul_f16_sdwa v130, v99, v123 dst_sel:DWORD dst_unused:UNUSED_PAD src0_sel:DWORD src1_sel:WORD_1
	s_waitcnt vmcnt(1)
	v_mul_f16_sdwa v90, v129, v2 dst_sel:DWORD dst_unused:UNUSED_PAD src0_sel:DWORD src1_sel:WORD_1
	v_mul_f16_sdwa v87, v88, v2 dst_sel:DWORD dst_unused:UNUSED_PAD src0_sel:DWORD src1_sel:WORD_1
	;; [unrolled: 1-line block ×4, first 2 shown]
	v_fmac_f16_e32 v130, v67, v123
	v_fmac_f16_e32 v90, v88, v2
	ds_read_u16 v84, v51
	ds_read_u16 v88, v48 offset:2916
	ds_read_u16 v116, v48 offset:4536
	;; [unrolled: 1-line block ×3, first 2 shown]
	ds_read_u16 v86, v50
	ds_read_u16 v118, v49
	v_fma_f16 v2, v129, v2, -v87
	v_mul_f16_sdwa v129, v94, v122 dst_sel:DWORD dst_unused:UNUSED_PAD src0_sel:DWORD src1_sel:WORD_1
	v_fmac_f16_e32 v119, v70, v3
	v_mul_f16_sdwa v70, v66, v122 dst_sel:DWORD dst_unused:UNUSED_PAD src0_sel:DWORD src1_sel:WORD_1
	s_waitcnt vmcnt(0)
	v_mul_f16_sdwa v138, v135, v126 dst_sel:DWORD dst_unused:UNUSED_PAD src0_sel:DWORD src1_sel:WORD_1
	v_fma_f16 v3, v92, v3, -v128
	v_fmac_f16_e32 v129, v66, v122
	v_mul_f16_sdwa v66, v67, v123 dst_sel:DWORD dst_unused:UNUSED_PAD src0_sel:DWORD src1_sel:WORD_1
	v_mul_f16_sdwa v67, v62, v124 dst_sel:DWORD dst_unused:UNUSED_PAD src0_sel:DWORD src1_sel:WORD_1
	;; [unrolled: 1-line block ×3, first 2 shown]
	v_fmac_f16_e32 v138, v64, v126
	v_fma_f16 v122, v94, v122, -v70
	v_add_f16_e32 v87, v97, v102
	v_fma_f16 v123, v99, v123, -v66
	v_fmac_f16_e32 v128, v69, v121
	s_waitcnt lgkmcnt(4)
	v_mul_f16_sdwa v133, v88, v124 dst_sel:DWORD dst_unused:UNUSED_PAD src0_sel:DWORD src1_sel:WORD_1
	s_waitcnt lgkmcnt(3)
	v_mul_f16_sdwa v134, v116, v125 dst_sel:DWORD dst_unused:UNUSED_PAD src0_sel:DWORD src1_sel:WORD_1
	v_fma_f16 v121, v89, v121, -v68
	v_add_f16_e32 v68, v103, v111
	v_add_f16_e32 v94, v132, v128
	v_fmac_f16_e32 v133, v62, v124
	v_mul_f16_sdwa v62, v63, v125 dst_sel:DWORD dst_unused:UNUSED_PAD src0_sel:DWORD src1_sel:WORD_1
	v_fmac_f16_e32 v134, v63, v125
	v_mul_f16_sdwa v63, v64, v126 dst_sel:DWORD dst_unused:UNUSED_PAD src0_sel:DWORD src1_sel:WORD_1
	v_add_f16_e32 v64, v14, v131
	v_fma_f16 v124, v88, v124, -v67
	v_fma_f16 v116, v116, v125, -v62
	v_mul_f16_sdwa v62, v65, v127 dst_sel:DWORD dst_unused:UNUSED_PAD src0_sel:DWORD src1_sel:WORD_1
	v_fma_f16 v126, v135, v126, -v63
	v_add_f16_e32 v63, v131, v136
	s_waitcnt lgkmcnt(2)
	v_mul_f16_sdwa v125, v117, v127 dst_sel:DWORD dst_unused:UNUSED_PAD src0_sel:DWORD src1_sel:WORD_1
	v_add_f16_e32 v88, v90, v119
	v_fma_f16 v117, v117, v127, -v62
	v_add_f16_e32 v62, v98, v137
	v_fmac_f16_e32 v14, -0.5, v63
	v_add_f16_e32 v63, v100, v98
	v_fmac_f16_e32 v125, v65, v127
	v_sub_f16_e32 v65, v98, v137
	v_fmac_f16_e32 v100, -0.5, v62
	v_add_f16_e32 v62, v64, v136
	v_add_f16_e32 v64, v108, v109
	;; [unrolled: 1-line block ×4, first 2 shown]
	v_sub_f16_e32 v66, v131, v136
	v_fmamk_f16 v67, v65, 0xbaee, v14
	v_fmac_f16_e32 v14, 0x3aee, v65
	v_add_f16_e32 v65, v61, v108
	v_fmac_f16_e32 v61, -0.5, v64
	v_sub_f16_e32 v64, v115, v113
	v_add_f16_e32 v69, v13, v101
	v_fmac_f16_e32 v13, -0.5, v63
	v_sub_f16_e32 v63, v110, v106
	v_add_f16_e32 v70, v60, v103
	v_fmac_f16_e32 v60, -0.5, v68
	v_sub_f16_e32 v68, v112, v114
	v_add_f16_e32 v89, v12, v97
	v_fmac_f16_e32 v12, -0.5, v87
	v_sub_f16_e32 v87, v105, v107
	v_add_f16_e32 v92, v10, v90
	v_fmac_f16_e32 v10, -0.5, v88
	v_sub_f16_e32 v88, v2, v3
	v_add_f16_e32 v98, v129, v130
	v_add_f16_e32 v99, v11, v132
	v_fmac_f16_e32 v11, -0.5, v94
	v_sub_f16_e32 v94, v120, v121
	v_fmamk_f16 v131, v66, 0x3aee, v100
	v_fmac_f16_e32 v100, 0xbaee, v66
	v_fmamk_f16 v66, v64, 0xbaee, v61
	v_fmac_f16_e32 v61, 0x3aee, v64
	;; [unrolled: 2-line block ×5, first 2 shown]
	v_fmamk_f16 v87, v88, 0xbaee, v10
	v_add_f16_e32 v135, v7, v129
	v_fmac_f16_e32 v7, -0.5, v98
	v_sub_f16_e32 v98, v122, v123
	v_fmac_f16_e32 v10, 0x3aee, v88
	v_fmamk_f16 v88, v94, 0xbaee, v11
	v_fmac_f16_e32 v11, 0x3aee, v94
	v_add_f16_e32 v94, v133, v134
	v_add_f16_e32 v137, v138, v125
	v_fmamk_f16 v136, v98, 0xbaee, v7
	v_fmac_f16_e32 v7, 0x3aee, v98
	v_add_f16_e32 v98, v8, v133
	v_fmac_f16_e32 v8, -0.5, v94
	v_sub_f16_e32 v94, v124, v116
	v_add_f16_e32 v140, v9, v138
	v_fmac_f16_e32 v9, -0.5, v137
	v_sub_f16_e32 v137, v126, v117
	v_fmamk_f16 v141, v94, 0xbaee, v8
	v_fmac_f16_e32 v8, 0x3aee, v94
	v_fmamk_f16 v94, v137, 0xbaee, v9
	v_fmac_f16_e32 v9, 0x3aee, v137
	ds_read_u16 v137, v52
	ds_read_u16 v142, v53
	;; [unrolled: 1-line block ×6, first 2 shown]
	s_waitcnt lgkmcnt(0)
	s_barrier
	buffer_gl0_inv
	ds_write_b16 v6, v62
	v_add_f16_e32 v62, v65, v109
	v_mul_u32_u24_sdwa v65, v73, v139 dst_sel:DWORD dst_unused:UNUSED_PAD src0_sel:WORD_0 src1_sel:DWORD
	ds_write_b16 v6, v67 offset:60
	ds_write_b16 v6, v14 offset:120
	ds_write_b16 v5, v62
	ds_write_b16 v5, v66 offset:60
	v_add_f16_e32 v62, v69, v104
	v_mul_u32_u24_e32 v66, 0xb4, v72
	v_add3_u32 v14, 0, v65, v71
	v_lshlrev_b32_sdwa v65, v59, v77 dst_sel:DWORD dst_unused:UNUSED_PAD src0_sel:DWORD src1_sel:WORD_0
	ds_write_b16 v5, v61 offset:120
	v_lshlrev_b32_sdwa v61, v59, v79 dst_sel:DWORD dst_unused:UNUSED_PAD src0_sel:DWORD src1_sel:WORD_0
	v_mul_u32_u24_e32 v67, 0xb4, v75
	ds_write_b16 v14, v62
	v_add3_u32 v79, 0, v66, v65
	v_add_f16_e32 v62, v70, v111
	ds_write_b16 v14, v64 offset:60
	v_add3_u32 v139, 0, v67, v61
	v_add_f16_e32 v61, v89, v102
	ds_write_b16 v14, v13 offset:120
	ds_write_b16 v79, v62
	ds_write_b16 v79, v63 offset:60
	ds_write_b16 v79, v60 offset:120
	ds_write_b16 v139, v61
	v_lshlrev_b32_sdwa v13, v59, v81 dst_sel:DWORD dst_unused:UNUSED_PAD src0_sel:DWORD src1_sel:WORD_0
	v_mul_u32_u24_e32 v60, 0xb4, v78
	v_lshlrev_b32_sdwa v61, v59, v83 dst_sel:DWORD dst_unused:UNUSED_PAD src0_sel:DWORD src1_sel:WORD_0
	v_mul_u32_u24_e32 v62, 0xb4, v80
	ds_write_b16 v139, v68 offset:60
	ds_write_b16 v139, v12 offset:120
	v_add3_u32 v12, 0, v60, v13
	v_add_f16_e32 v13, v92, v119
	v_add3_u32 v80, 0, v62, v61
	v_lshlrev_b32_sdwa v61, v59, v96 dst_sel:DWORD dst_unused:UNUSED_PAD src0_sel:DWORD src1_sel:WORD_0
	v_mul_u32_u24_e32 v62, 0xb4, v82
	v_add_f16_e32 v60, v99, v128
	ds_write_b16 v12, v13
	ds_write_b16 v12, v87 offset:60
	ds_write_b16 v12, v10 offset:120
	ds_write_b16 v80, v60
	v_add_f16_e32 v13, v135, v130
	v_add3_u32 v10, 0, v62, v61
	v_lshlrev_b32_sdwa v60, v59, v95 dst_sel:DWORD dst_unused:UNUSED_PAD src0_sel:DWORD src1_sel:WORD_0
	v_mul_u32_u24_e32 v61, 0xb4, v91
	ds_write_b16 v80, v88 offset:60
	ds_write_b16 v80, v11 offset:120
	ds_write_b16 v10, v13
	v_lshlrev_b32_sdwa v11, v59, v93 dst_sel:DWORD dst_unused:UNUSED_PAD src0_sel:DWORD src1_sel:WORD_0
	v_mul_u32_u24_e32 v13, 0xb4, v85
	v_add3_u32 v81, 0, v61, v60
	v_add_f16_e32 v60, v98, v134
	v_add_f16_e32 v61, v140, v125
	ds_write_b16 v10, v136 offset:60
	v_add3_u32 v11, 0, v13, v11
	ds_write_b16 v10, v7 offset:120
	ds_write_b16 v81, v60
	ds_write_b16 v81, v141 offset:60
	ds_write_b16 v81, v8 offset:120
	ds_write_b16 v11, v61
	ds_write_b16 v11, v94 offset:60
	ds_write_b16 v11, v9 offset:120
	v_add_f16_e32 v7, v115, v113
	v_add_f16_e32 v8, v145, v115
	s_waitcnt lgkmcnt(0)
	s_barrier
	buffer_gl0_inv
	v_fmac_f16_e32 v145, -0.5, v7
	v_sub_f16_e32 v7, v108, v109
	ds_read_u16 v91, v48 offset:3564
	ds_read_u16 v88, v48 offset:3726
	;; [unrolled: 1-line block ×3, first 2 shown]
	ds_read_u16 v62, v51
	ds_read_u16 v67, v48
	ds_read_u16 v96, v48 offset:1620
	ds_read_u16 v95, v48 offset:1782
	;; [unrolled: 1-line block ×7, first 2 shown]
	ds_read_u16 v63, v52
	ds_read_u16 v60, v53
	;; [unrolled: 1-line block ×3, first 2 shown]
	ds_read_u16 v74, v48 offset:2754
	ds_read_u16 v70, v48 offset:2916
	;; [unrolled: 1-line block ×6, first 2 shown]
	ds_read_u16 v68, v56
	ds_read_u16 v69, v57
	;; [unrolled: 1-line block ×3, first 2 shown]
	ds_read_u16 v98, v48 offset:3402
	ds_read_u16 v99, v48 offset:3240
	;; [unrolled: 1-line block ×3, first 2 shown]
	ds_read_u16 v65, v50
	ds_read_u16 v66, v49
	ds_read_u16 v71, v48 offset:4698
	s_waitcnt lgkmcnt(0)
	s_barrier
	buffer_gl0_inv
	ds_write_b16 v6, v127
	ds_write_b16 v6, v131 offset:60
	ds_write_b16 v6, v100 offset:120
	v_add_f16_e32 v6, v8, v113
	v_add_f16_e32 v8, v110, v106
	v_fmamk_f16 v9, v7, 0x3aee, v145
	v_fmac_f16_e32 v145, 0xbaee, v7
	v_add_f16_e32 v7, v112, v114
	v_add_f16_e32 v13, v144, v110
	v_fmac_f16_e32 v144, -0.5, v8
	v_sub_f16_e32 v8, v101, v104
	v_add_f16_e32 v82, v118, v112
	v_fmac_f16_e32 v118, -0.5, v7
	v_sub_f16_e32 v7, v103, v111
	v_add_f16_e32 v100, v86, v105
	v_fmamk_f16 v83, v8, 0x3aee, v144
	v_fmac_f16_e32 v144, 0xbaee, v8
	v_add_f16_e32 v8, v82, v114
	v_add_f16_e32 v82, v105, v107
	v_fmamk_f16 v85, v7, 0x3aee, v118
	v_fmac_f16_e32 v118, 0xbaee, v7
	v_add_f16_e32 v7, v2, v3
	v_add_f16_e32 v2, v84, v2
	v_fmac_f16_e32 v86, -0.5, v82
	v_sub_f16_e32 v82, v97, v102
	v_add_f16_e32 v101, v142, v122
	v_fmac_f16_e32 v84, -0.5, v7
	v_sub_f16_e32 v7, v90, v119
	v_add_f16_e32 v2, v2, v3
	v_add_f16_e32 v3, v120, v121
	v_add_f16_e32 v90, v100, v107
	v_fmamk_f16 v97, v82, 0x3aee, v86
	v_fmac_f16_e32 v86, 0xbaee, v82
	v_fmamk_f16 v82, v7, 0x3aee, v84
	v_fmac_f16_e32 v84, 0xbaee, v7
	v_add_f16_e32 v7, v122, v123
	v_add_f16_e32 v100, v137, v120
	v_fmac_f16_e32 v137, -0.5, v3
	v_sub_f16_e32 v3, v132, v128
	v_add_f16_e32 v104, v143, v124
	v_fmac_f16_e32 v142, -0.5, v7
	v_sub_f16_e32 v7, v129, v130
	v_add_f16_e32 v105, v146, v126
	v_fmamk_f16 v102, v3, 0x3aee, v137
	v_fmac_f16_e32 v137, 0xbaee, v3
	v_add_f16_e32 v3, v101, v123
	v_add_f16_e32 v101, v124, v116
	v_fmamk_f16 v103, v7, 0x3aee, v142
	v_fmac_f16_e32 v142, 0xbaee, v7
	v_add_f16_e32 v7, v126, v117
	v_add_f16_e32 v13, v13, v106
	v_fmac_f16_e32 v143, -0.5, v101
	v_sub_f16_e32 v101, v133, v134
	v_add_f16_e32 v104, v104, v116
	v_fmac_f16_e32 v146, -0.5, v7
	v_sub_f16_e32 v7, v138, v125
	v_add_f16_e32 v100, v100, v121
	v_fmamk_f16 v106, v101, 0x3aee, v143
	v_fmac_f16_e32 v143, 0xbaee, v101
	v_add_f16_e32 v101, v105, v117
	ds_write_b16 v5, v6
	ds_write_b16 v5, v9 offset:60
	ds_write_b16 v5, v145 offset:120
	ds_write_b16 v14, v13
	ds_write_b16 v14, v83 offset:60
	ds_write_b16 v14, v144 offset:120
	;; [unrolled: 3-line block ×7, first 2 shown]
	v_add_nc_u32_e32 v5, -9, v34
	v_lshlrev_b32_e32 v2, 1, v34
	v_mov_b32_e32 v3, 0
	v_fmamk_f16 v105, v7, 0x3aee, v146
	ds_write_b16 v81, v104
	ds_write_b16 v81, v106 offset:60
	ds_write_b16 v81, v143 offset:120
	ds_write_b16 v11, v101
	v_mul_lo_u16 v10, 0xb7, v4
	v_mov_b32_e32 v101, 0x2d83
	v_fmac_f16_e32 v146, 0xbaee, v7
	v_cndmask_b32_e64 v5, v5, v38, s0
	v_lshlrev_b64 v[8:9], 2, v[2:3]
	ds_write_b16 v11, v105 offset:60
	ds_write_b16 v11, v146 offset:120
	v_lshrrev_b16 v80, 14, v10
	v_mul_u32_u24_sdwa v11, v39, v101 dst_sel:DWORD dst_unused:UNUSED_PAD src0_sel:WORD_0 src1_sel:DWORD
	v_lshlrev_b32_e32 v6, 1, v5
	v_mov_b32_e32 v7, v3
	v_add_co_u32 v4, s0, s8, v8
	v_mul_lo_u16 v12, 0x5a, v80
	v_lshrrev_b32_e32 v79, 20, v11
	v_add_co_ci_u32_e64 v5, s0, s9, v9, s0
	v_lshlrev_b64 v[9:10], 2, v[6:7]
	v_sub_nc_u16 v81, v37, v12
	v_mul_lo_u16 v12, 0x5a, v79
	v_mul_u32_u24_sdwa v11, v40, v101 dst_sel:DWORD dst_unused:UNUSED_PAD src0_sel:WORD_0 src1_sel:DWORD
	s_waitcnt lgkmcnt(0)
	s_barrier
	v_add_co_u32 v9, s0, s8, v9
	v_add_co_ci_u32_e64 v10, s0, s9, v10, s0
	v_sub_nc_u16 v83, v39, v12
	buffer_gl0_inv
	s_clause 0x1
	global_load_dwordx2 v[7:8], v[4:5], off offset:320
	global_load_dwordx2 v[13:14], v[9:10], off offset:320
	v_lshlrev_b32_sdwa v9, v58, v81 dst_sel:DWORD dst_unused:UNUSED_PAD src0_sel:DWORD src1_sel:BYTE_0
	v_lshrrev_b32_e32 v82, 20, v11
	v_lshlrev_b32_sdwa v86, v58, v83 dst_sel:DWORD dst_unused:UNUSED_PAD src0_sel:DWORD src1_sel:WORD_0
	v_mul_u32_u24_sdwa v10, v41, v101 dst_sel:DWORD dst_unused:UNUSED_PAD src0_sel:WORD_0 src1_sel:DWORD
	v_mul_u32_u24_sdwa v97, v43, v101 dst_sel:DWORD dst_unused:UNUSED_PAD src0_sel:WORD_0 src1_sel:DWORD
	global_load_dwordx2 v[11:12], v9, s[8:9] offset:320
	v_mul_u32_u24_sdwa v102, v44, v101 dst_sel:DWORD dst_unused:UNUSED_PAD src0_sel:WORD_0 src1_sel:DWORD
	global_load_dwordx2 v[106:107], v86, s[8:9] offset:320
	v_mul_lo_u16 v9, 0x5a, v82
	v_lshrrev_b32_e32 v84, 20, v10
	v_lshrrev_b32_e32 v97, 20, v97
	v_mul_u32_u24_sdwa v104, v45, v101 dst_sel:DWORD dst_unused:UNUSED_PAD src0_sel:WORD_0 src1_sel:DWORD
	v_cmp_lt_u32_e64 s0, 8, v34
	v_sub_nc_u16 v85, v40, v9
	v_mul_lo_u16 v10, 0x5a, v84
	v_mul_lo_u16 v103, 0x5a, v97
	v_lshlrev_b32_sdwa v9, v58, v85 dst_sel:DWORD dst_unused:UNUSED_PAD src0_sel:DWORD src1_sel:WORD_0
	v_sub_nc_u16 v86, v41, v10
	v_sub_nc_u16 v103, v43, v103
	global_load_dwordx2 v[108:109], v9, s[8:9] offset:320
	v_mul_u32_u24_sdwa v9, v42, v101 dst_sel:DWORD dst_unused:UNUSED_PAD src0_sel:WORD_0 src1_sel:DWORD
	v_lshlrev_b32_sdwa v10, v58, v86 dst_sel:DWORD dst_unused:UNUSED_PAD src0_sel:DWORD src1_sel:WORD_0
	v_lshrrev_b32_e32 v101, 20, v102
	v_lshrrev_b32_e32 v102, 20, v104
	;; [unrolled: 1-line block ×3, first 2 shown]
	global_load_dwordx2 v[9:10], v10, s[8:9] offset:320
	v_mul_lo_u16 v104, 0x5a, v101
	v_mul_lo_u16 v102, 0x5a, v102
	;; [unrolled: 1-line block ×3, first 2 shown]
	v_sub_nc_u16 v104, v44, v104
	v_sub_nc_u16 v102, v45, v102
	v_sub_nc_u16 v100, v42, v100
	v_and_b32_e32 v102, 0xffff, v102
	v_lshlrev_b32_sdwa v105, v58, v100 dst_sel:DWORD dst_unused:UNUSED_PAD src0_sel:DWORD src1_sel:WORD_0
	global_load_dwordx2 v[110:111], v105, s[8:9] offset:320
	v_lshlrev_b32_sdwa v105, v58, v103 dst_sel:DWORD dst_unused:UNUSED_PAD src0_sel:DWORD src1_sel:WORD_0
	global_load_dwordx2 v[112:113], v105, s[8:9] offset:320
	;; [unrolled: 2-line block ×3, first 2 shown]
	v_lshlrev_b32_e32 v105, 3, v102
	global_load_dwordx2 v[116:117], v105, s[8:9] offset:320
	ds_read_u16 v118, v48 offset:1620
	ds_read_u16 v119, v48 offset:3240
	;; [unrolled: 1-line block ×9, first 2 shown]
	ds_read_u16 v105, v48
	ds_read_u16 v128, v48 offset:3564
	ds_read_u16 v129, v48 offset:3726
	;; [unrolled: 1-line block ×4, first 2 shown]
	s_waitcnt vmcnt(9) lgkmcnt(13)
	v_mul_f16_sdwa v127, v118, v7 dst_sel:DWORD dst_unused:UNUSED_PAD src0_sel:DWORD src1_sel:WORD_1
	v_mul_f16_sdwa v131, v96, v7 dst_sel:DWORD dst_unused:UNUSED_PAD src0_sel:DWORD src1_sel:WORD_1
	s_waitcnt lgkmcnt(12)
	v_mul_f16_sdwa v133, v119, v8 dst_sel:DWORD dst_unused:UNUSED_PAD src0_sel:DWORD src1_sel:WORD_1
	v_mul_f16_sdwa v134, v99, v8 dst_sel:DWORD dst_unused:UNUSED_PAD src0_sel:DWORD src1_sel:WORD_1
	v_fmac_f16_e32 v127, v96, v7
	v_fma_f16 v7, v118, v7, -v131
	s_waitcnt vmcnt(8) lgkmcnt(11)
	v_mul_f16_sdwa v96, v120, v13 dst_sel:DWORD dst_unused:UNUSED_PAD src0_sel:DWORD src1_sel:WORD_1
	s_waitcnt lgkmcnt(10)
	v_mul_f16_sdwa v118, v121, v14 dst_sel:DWORD dst_unused:UNUSED_PAD src0_sel:DWORD src1_sel:WORD_1
	v_fmac_f16_e32 v133, v99, v8
	v_fma_f16 v8, v119, v8, -v134
	v_mul_f16_sdwa v99, v95, v13 dst_sel:DWORD dst_unused:UNUSED_PAD src0_sel:DWORD src1_sel:WORD_1
	v_mul_f16_sdwa v119, v98, v14 dst_sel:DWORD dst_unused:UNUSED_PAD src0_sel:DWORD src1_sel:WORD_1
	v_fmac_f16_e32 v96, v95, v13
	s_waitcnt vmcnt(7) lgkmcnt(9)
	v_mul_f16_sdwa v95, v122, v11 dst_sel:DWORD dst_unused:UNUSED_PAD src0_sel:DWORD src1_sel:WORD_1
	v_fmac_f16_e32 v118, v98, v14
	v_mul_f16_sdwa v98, v94, v11 dst_sel:DWORD dst_unused:UNUSED_PAD src0_sel:DWORD src1_sel:WORD_1
	v_fma_f16 v14, v121, v14, -v119
	s_waitcnt vmcnt(6) lgkmcnt(8)
	v_mul_f16_sdwa v119, v123, v106 dst_sel:DWORD dst_unused:UNUSED_PAD src0_sel:DWORD src1_sel:WORD_1
	v_fmac_f16_e32 v95, v94, v11
	s_waitcnt lgkmcnt(3)
	v_mul_f16_sdwa v94, v128, v12 dst_sel:DWORD dst_unused:UNUSED_PAD src0_sel:DWORD src1_sel:WORD_1
	v_fma_f16 v11, v122, v11, -v98
	v_mul_f16_sdwa v98, v93, v106 dst_sel:DWORD dst_unused:UNUSED_PAD src0_sel:DWORD src1_sel:WORD_1
	v_fma_f16 v13, v120, v13, -v99
	ds_read_u16 v120, v48 offset:4050
	v_mul_f16_sdwa v99, v91, v12 dst_sel:DWORD dst_unused:UNUSED_PAD src0_sel:DWORD src1_sel:WORD_1
	v_fmac_f16_e32 v94, v91, v12
	v_fmac_f16_e32 v119, v93, v106
	s_waitcnt lgkmcnt(3)
	v_mul_f16_sdwa v91, v129, v107 dst_sel:DWORD dst_unused:UNUSED_PAD src0_sel:DWORD src1_sel:WORD_1
	v_fma_f16 v93, v123, v106, -v98
	v_mul_f16_sdwa v98, v88, v107 dst_sel:DWORD dst_unused:UNUSED_PAD src0_sel:DWORD src1_sel:WORD_1
	v_fma_f16 v12, v128, v12, -v99
	s_waitcnt vmcnt(5)
	v_mul_f16_sdwa v99, v124, v108 dst_sel:DWORD dst_unused:UNUSED_PAD src0_sel:DWORD src1_sel:WORD_1
	v_mul_f16_sdwa v106, v92, v108 dst_sel:DWORD dst_unused:UNUSED_PAD src0_sel:DWORD src1_sel:WORD_1
	v_fmac_f16_e32 v91, v88, v107
	v_fma_f16 v88, v129, v107, -v98
	ds_read_u16 v107, v48 offset:4212
	ds_read_u16 v121, v48 offset:2754
	v_fmac_f16_e32 v99, v92, v108
	s_waitcnt lgkmcnt(4)
	v_mul_f16_sdwa v92, v130, v109 dst_sel:DWORD dst_unused:UNUSED_PAD src0_sel:DWORD src1_sel:WORD_1
	v_fma_f16 v98, v124, v108, -v106
	v_mul_f16_sdwa v106, v87, v109 dst_sel:DWORD dst_unused:UNUSED_PAD src0_sel:DWORD src1_sel:WORD_1
	s_waitcnt vmcnt(4)
	v_mul_f16_sdwa v108, v125, v9 dst_sel:DWORD dst_unused:UNUSED_PAD src0_sel:DWORD src1_sel:WORD_1
	v_mul_f16_sdwa v131, v78, v10 dst_sel:DWORD dst_unused:UNUSED_PAD src0_sel:DWORD src1_sel:WORD_1
	v_fmac_f16_e32 v92, v87, v109
	v_mul_f16_sdwa v87, v89, v9 dst_sel:DWORD dst_unused:UNUSED_PAD src0_sel:DWORD src1_sel:WORD_1
	v_fma_f16 v106, v130, v109, -v106
	v_fmac_f16_e32 v108, v89, v9
	ds_read_u16 v89, v51
	ds_read_u16 v109, v48 offset:4374
	ds_read_u16 v122, v48 offset:4536
	;; [unrolled: 1-line block ×3, first 2 shown]
	ds_read_u16 v124, v50
	ds_read_u16 v128, v49
	s_waitcnt lgkmcnt(8)
	v_mul_f16_sdwa v129, v120, v10 dst_sel:DWORD dst_unused:UNUSED_PAD src0_sel:DWORD src1_sel:WORD_1
	ds_read_u16 v130, v48 offset:2916
	v_fma_f16 v9, v125, v9, -v87
	s_waitcnt vmcnt(3)
	v_mul_f16_sdwa v87, v126, v110 dst_sel:DWORD dst_unused:UNUSED_PAD src0_sel:DWORD src1_sel:WORD_1
	v_mul_f16_sdwa v125, v75, v110 dst_sel:DWORD dst_unused:UNUSED_PAD src0_sel:DWORD src1_sel:WORD_1
	v_fmac_f16_e32 v129, v78, v10
	v_fma_f16 v10, v120, v10, -v131
	s_waitcnt lgkmcnt(8)
	v_mul_f16_sdwa v78, v107, v111 dst_sel:DWORD dst_unused:UNUSED_PAD src0_sel:DWORD src1_sel:WORD_1
	s_waitcnt vmcnt(2) lgkmcnt(7)
	v_mul_f16_sdwa v120, v121, v112 dst_sel:DWORD dst_unused:UNUSED_PAD src0_sel:DWORD src1_sel:WORD_1
	v_fmac_f16_e32 v87, v75, v110
	v_fma_f16 v75, v126, v110, -v125
	v_mul_f16_sdwa v110, v77, v111 dst_sel:DWORD dst_unused:UNUSED_PAD src0_sel:DWORD src1_sel:WORD_1
	v_fmac_f16_e32 v78, v77, v111
	v_mul_f16_sdwa v77, v74, v112 dst_sel:DWORD dst_unused:UNUSED_PAD src0_sel:DWORD src1_sel:WORD_1
	v_fmac_f16_e32 v120, v74, v112
	s_waitcnt lgkmcnt(5)
	v_mul_f16_sdwa v125, v109, v113 dst_sel:DWORD dst_unused:UNUSED_PAD src0_sel:DWORD src1_sel:WORD_1
	v_mul_f16_sdwa v74, v76, v113 dst_sel:DWORD dst_unused:UNUSED_PAD src0_sel:DWORD src1_sel:WORD_1
	v_fma_f16 v107, v107, v111, -v110
	v_fma_f16 v77, v121, v112, -v77
	s_waitcnt vmcnt(1)
	v_mul_f16_sdwa v110, v70, v114 dst_sel:DWORD dst_unused:UNUSED_PAD src0_sel:DWORD src1_sel:WORD_1
	v_fmac_f16_e32 v125, v76, v113
	v_fma_f16 v74, v109, v113, -v74
	v_mul_f16_sdwa v109, v72, v115 dst_sel:DWORD dst_unused:UNUSED_PAD src0_sel:DWORD src1_sel:WORD_1
	s_waitcnt vmcnt(0) lgkmcnt(3)
	v_mul_f16_sdwa v112, v123, v117 dst_sel:DWORD dst_unused:UNUSED_PAD src0_sel:DWORD src1_sel:WORD_1
	v_mul_f16_sdwa v113, v71, v117 dst_sel:DWORD dst_unused:UNUSED_PAD src0_sel:DWORD src1_sel:WORD_1
	;; [unrolled: 1-line block ×3, first 2 shown]
	v_add_f16_e32 v121, v69, v96
	v_fma_f16 v109, v122, v115, -v109
	ds_read_u16 v122, v52
	s_waitcnt lgkmcnt(1)
	v_mul_f16_sdwa v76, v130, v114 dst_sel:DWORD dst_unused:UNUSED_PAD src0_sel:DWORD src1_sel:WORD_1
	v_fmac_f16_e32 v112, v71, v117
	v_fma_f16 v71, v123, v117, -v113
	ds_read_u16 v117, v56
	v_fmac_f16_e32 v111, v72, v115
	v_fmac_f16_e32 v76, v70, v114
	v_fma_f16 v70, v130, v114, -v110
	v_mul_f16_sdwa v72, v132, v116 dst_sel:DWORD dst_unused:UNUSED_PAD src0_sel:DWORD src1_sel:WORD_1
	ds_read_u16 v114, v57
	v_mul_f16_sdwa v110, v73, v116 dst_sel:DWORD dst_unused:UNUSED_PAD src0_sel:DWORD src1_sel:WORD_1
	v_add_f16_e32 v113, v127, v133
	v_add_f16_e32 v115, v67, v127
	v_fmac_f16_e32 v72, v73, v116
	v_cndmask_b32_e64 v73, 0, 0x21c, s0
	v_fma_f16 v110, v132, v116, -v110
	v_fmac_f16_e32 v67, -0.5, v113
	v_sub_f16_e32 v113, v7, v8
	v_add_f16_e32 v115, v115, v133
	v_add3_u32 v6, 0, v73, v6
	v_add_f16_e32 v73, v7, v8
	v_add_f16_e32 v7, v105, v7
	v_fmamk_f16 v116, v113, 0xbaee, v67
	v_fmac_f16_e32 v67, 0x3aee, v113
	v_add_f16_e32 v113, v96, v118
	v_fmac_f16_e32 v105, -0.5, v73
	v_sub_f16_e32 v73, v127, v133
	v_add_f16_e32 v7, v7, v8
	v_cmp_gt_u32_e64 s0, 27, v34
	v_fmac_f16_e32 v69, -0.5, v113
	v_sub_f16_e32 v113, v13, v14
	v_fmamk_f16 v8, v73, 0x3aee, v105
	v_fmac_f16_e32 v105, 0xbaee, v73
	v_add_f16_e32 v73, v13, v14
	s_waitcnt lgkmcnt(0)
	v_add_f16_e32 v13, v114, v13
	v_fmac_f16_e32 v114, -0.5, v73
	v_sub_f16_e32 v73, v96, v118
	v_add_f16_e32 v96, v121, v118
	v_fmamk_f16 v118, v113, 0xbaee, v69
	v_fmac_f16_e32 v69, 0x3aee, v113
	v_add_f16_e32 v113, v13, v14
	v_add_f16_e32 v13, v95, v94
	v_fmamk_f16 v121, v73, 0x3aee, v114
	v_fmac_f16_e32 v114, 0xbaee, v73
	v_add_f16_e32 v14, v11, v12
	v_add_f16_e32 v73, v68, v95
	v_fmac_f16_e32 v68, -0.5, v13
	v_sub_f16_e32 v13, v11, v12
	v_add_f16_e32 v11, v117, v11
	v_fmac_f16_e32 v117, -0.5, v14
	v_add_f16_e32 v14, v73, v94
	v_sub_f16_e32 v73, v95, v94
	v_fmamk_f16 v94, v13, 0xbaee, v68
	v_add_f16_e32 v11, v11, v12
	v_add_f16_e32 v12, v119, v91
	v_fmac_f16_e32 v68, 0x3aee, v13
	v_fmamk_f16 v95, v73, 0x3aee, v117
	v_fmac_f16_e32 v117, 0xbaee, v73
	v_add_f16_e32 v13, v93, v88
	v_add_f16_e32 v73, v66, v119
	v_fmac_f16_e32 v66, -0.5, v12
	v_sub_f16_e32 v12, v93, v88
	v_add_f16_e32 v93, v128, v93
	v_fmac_f16_e32 v128, -0.5, v13
	v_add_f16_e32 v13, v73, v91
	v_sub_f16_e32 v73, v119, v91
	v_fmamk_f16 v91, v12, 0xbaee, v66
	v_fmac_f16_e32 v66, 0x3aee, v12
	v_add_f16_e32 v12, v99, v92
	v_add_f16_e32 v88, v93, v88
	v_fmamk_f16 v93, v73, 0x3aee, v128
	v_fmac_f16_e32 v128, 0xbaee, v73
	v_add_f16_e32 v73, v98, v106
	v_add_f16_e32 v119, v65, v99
	v_fmac_f16_e32 v65, -0.5, v12
	v_sub_f16_e32 v12, v98, v106
	v_add_f16_e32 v98, v124, v98
	v_fmac_f16_e32 v124, -0.5, v73
	v_sub_f16_e32 v73, v99, v92
	v_add_f16_e32 v92, v119, v92
	v_fmamk_f16 v99, v12, 0xbaee, v65
	v_fmac_f16_e32 v65, 0x3aee, v12
	v_add_f16_e32 v12, v108, v129
	v_add_f16_e32 v119, v9, v10
	v_add_f16_e32 v98, v98, v106
	v_fmamk_f16 v106, v73, 0x3aee, v124
	v_fmac_f16_e32 v124, 0xbaee, v73
	v_add_f16_e32 v73, v62, v108
	v_fmac_f16_e32 v62, -0.5, v12
	v_sub_f16_e32 v12, v9, v10
	v_add_f16_e32 v9, v89, v9
	v_fmac_f16_e32 v89, -0.5, v119
	v_sub_f16_e32 v108, v108, v129
	v_add_f16_e32 v73, v73, v129
	v_fmamk_f16 v119, v12, 0xbaee, v62
	v_add_f16_e32 v9, v9, v10
	v_add_f16_e32 v10, v87, v78
	v_fmamk_f16 v123, v108, 0x3aee, v89
	v_fmac_f16_e32 v89, 0xbaee, v108
	ds_read_u16 v108, v53
	v_fmac_f16_e32 v62, 0x3aee, v12
	v_add_f16_e32 v12, v63, v87
	v_fmac_f16_e32 v63, -0.5, v10
	v_add_f16_e32 v10, v75, v107
	v_sub_f16_e32 v129, v75, v107
	v_add_f16_e32 v75, v122, v75
	ds_read_u16 v126, v54
	ds_read_u16 v127, v55
	s_waitcnt lgkmcnt(0)
	v_fmac_f16_e32 v122, -0.5, v10
	v_add_f16_e32 v10, v12, v78
	v_sub_f16_e32 v12, v87, v78
	v_add_f16_e32 v107, v75, v107
	v_add_f16_e32 v75, v120, v125
	v_fmamk_f16 v78, v129, 0xbaee, v63
	v_fmac_f16_e32 v63, 0x3aee, v129
	v_fmamk_f16 v129, v12, 0x3aee, v122
	v_fmac_f16_e32 v122, 0xbaee, v12
	v_add_f16_e32 v12, v77, v74
	v_add_f16_e32 v87, v60, v120
	v_fmac_f16_e32 v60, -0.5, v75
	v_sub_f16_e32 v75, v77, v74
	v_add_f16_e32 v77, v108, v77
	v_fmac_f16_e32 v108, -0.5, v12
	v_add_f16_e32 v12, v87, v125
	v_sub_f16_e32 v87, v120, v125
	v_fmamk_f16 v120, v75, 0xbaee, v60
	v_add_f16_e32 v77, v77, v74
	v_add_f16_e32 v74, v76, v111
	v_fmac_f16_e32 v60, 0x3aee, v75
	v_fmamk_f16 v125, v87, 0x3aee, v108
	v_fmac_f16_e32 v108, 0xbaee, v87
	v_add_f16_e32 v75, v70, v109
	v_add_f16_e32 v87, v61, v76
	v_fmac_f16_e32 v61, -0.5, v74
	v_sub_f16_e32 v74, v70, v109
	v_add_f16_e32 v70, v126, v70
	v_fmac_f16_e32 v126, -0.5, v75
	v_sub_f16_e32 v76, v76, v111
	v_add_f16_e32 v75, v87, v111
	v_fmamk_f16 v87, v74, 0xbaee, v61
	v_add_f16_e32 v109, v70, v109
	v_add_f16_e32 v70, v72, v112
	v_fmac_f16_e32 v61, 0x3aee, v74
	v_fmamk_f16 v111, v76, 0x3aee, v126
	v_fmac_f16_e32 v126, 0xbaee, v76
	v_add_f16_e32 v74, v110, v71
	v_add_f16_e32 v76, v64, v72
	v_fmac_f16_e32 v64, -0.5, v70
	v_sub_f16_e32 v70, v110, v71
	v_add_f16_e32 v110, v127, v110
	v_fmac_f16_e32 v127, -0.5, v74
	v_add_f16_e32 v74, v76, v112
	s_barrier
	v_fmamk_f16 v76, v70, 0xbaee, v64
	v_fmac_f16_e32 v64, 0x3aee, v70
	v_mov_b32_e32 v70, 0x21c
	v_add_f16_e32 v110, v110, v71
	v_lshlrev_b32_sdwa v71, v59, v81 dst_sel:DWORD dst_unused:UNUSED_PAD src0_sel:DWORD src1_sel:BYTE_0
	buffer_gl0_inv
	ds_write_b16 v48, v115
	ds_write_b16 v48, v116 offset:180
	v_mul_u32_u24_sdwa v70, v80, v70 dst_sel:DWORD dst_unused:UNUSED_PAD src0_sel:WORD_0 src1_sel:DWORD
	ds_write_b16 v48, v67 offset:360
	ds_write_b16 v6, v96
	ds_write_b16 v6, v118 offset:180
	ds_write_b16 v6, v69 offset:360
	v_lshlrev_b32_sdwa v67, v59, v83 dst_sel:DWORD dst_unused:UNUSED_PAD src0_sel:DWORD src1_sel:WORD_0
	v_mul_u32_u24_e32 v69, 0x21c, v79
	v_sub_f16_e32 v72, v72, v112
	v_add3_u32 v115, 0, v70, v71
	v_mul_u32_u24_e32 v71, 0x21c, v82
	v_lshlrev_b32_sdwa v70, v59, v85 dst_sel:DWORD dst_unused:UNUSED_PAD src0_sel:DWORD src1_sel:WORD_0
	v_add3_u32 v82, 0, v69, v67
	ds_write_b16 v115, v14
	ds_write_b16 v115, v94 offset:180
	ds_write_b16 v115, v68 offset:360
	v_lshlrev_b32_sdwa v14, v59, v86 dst_sel:DWORD dst_unused:UNUSED_PAD src0_sel:DWORD src1_sel:WORD_0
	v_mul_u32_u24_e32 v69, 0x21c, v84
	v_lshlrev_b32_sdwa v67, v59, v100 dst_sel:DWORD dst_unused:UNUSED_PAD src0_sel:DWORD src1_sel:WORD_0
	ds_write_b16 v82, v13
	ds_write_b16 v82, v91 offset:180
	ds_write_b16 v82, v66 offset:360
	v_mul_u32_u24_e32 v13, 0x21c, v90
	v_add3_u32 v94, 0, v71, v70
	v_lshlrev_b32_sdwa v68, v59, v103 dst_sel:DWORD dst_unused:UNUSED_PAD src0_sel:DWORD src1_sel:WORD_0
	v_add3_u32 v91, 0, v69, v14
	v_mul_u32_u24_e32 v14, 0x21c, v97
	v_lshlrev_b32_sdwa v70, v59, v104 dst_sel:DWORD dst_unused:UNUSED_PAD src0_sel:DWORD src1_sel:WORD_0
	v_add3_u32 v90, 0, v13, v67
	v_mul_u32_u24_e32 v13, 0x21c, v101
	ds_write_b16 v94, v92
	v_add3_u32 v92, 0, v14, v68
	ds_write_b16 v94, v99 offset:180
	ds_write_b16 v94, v65 offset:360
	ds_write_b16 v91, v73
	ds_write_b16 v91, v119 offset:180
	ds_write_b16 v91, v62 offset:360
	ds_write_b16 v90, v10
	ds_write_b16 v90, v78 offset:180
	ds_write_b16 v90, v63 offset:360
	v_add3_u32 v10, 0, v13, v70
	v_lshl_add_u32 v78, v102, 1, 0
	v_fmamk_f16 v112, v72, 0x3aee, v127
	v_fmac_f16_e32 v127, 0xbaee, v72
	ds_write_b16 v92, v12
	ds_write_b16 v92, v120 offset:180
	ds_write_b16 v92, v60 offset:360
	ds_write_b16 v10, v75
	ds_write_b16 v10, v87 offset:180
	ds_write_b16 v10, v61 offset:360
	;; [unrolled: 1-line block ×5, first 2 shown]
	s_waitcnt lgkmcnt(0)
	s_barrier
	buffer_gl0_inv
	ds_read_u16 v83, v48 offset:3564
	ds_read_u16 v80, v48 offset:3726
	;; [unrolled: 1-line block ×3, first 2 shown]
	ds_read_u16 v14, v51
	ds_read_u16 v62, v48
	ds_read_u16 v87, v48 offset:1620
	ds_read_u16 v86, v48 offset:1782
	;; [unrolled: 1-line block ×7, first 2 shown]
	ds_read_u16 v61, v52
	ds_read_u16 v12, v53
	;; [unrolled: 1-line block ×3, first 2 shown]
	ds_read_u16 v72, v48 offset:2754
	ds_read_u16 v67, v48 offset:2916
	;; [unrolled: 1-line block ×6, first 2 shown]
	ds_read_u16 v65, v56
	ds_read_u16 v66, v57
	;; [unrolled: 1-line block ×3, first 2 shown]
	ds_read_u16 v116, v48 offset:3402
	ds_read_u16 v118, v48 offset:3240
	;; [unrolled: 1-line block ×3, first 2 shown]
	ds_read_u16 v63, v50
	ds_read_u16 v64, v49
	ds_read_u16 v70, v48 offset:4698
	s_waitcnt lgkmcnt(0)
	s_barrier
	buffer_gl0_inv
	ds_write_b16 v48, v7
	ds_write_b16 v48, v8 offset:180
	ds_write_b16 v48, v105 offset:360
	ds_write_b16 v6, v113
	ds_write_b16 v6, v121 offset:180
	ds_write_b16 v6, v114 offset:360
	;; [unrolled: 3-line block ×9, first 2 shown]
	ds_write_b16 v78, v110 offset:4320
	ds_write_b16 v78, v112 offset:4500
	;; [unrolled: 1-line block ×3, first 2 shown]
	v_subrev_nc_u32_e32 v10, 27, v34
	v_lshlrev_b32_e32 v6, 1, v38
	v_mov_b32_e32 v7, v3
	v_lshlrev_b32_e32 v8, 1, v37
	v_mov_b32_e32 v9, v3
	v_cndmask_b32_e64 v10, v10, v39, s0
	v_mov_b32_e32 v11, v3
	v_lshlrev_b64 v[6:7], 2, v[6:7]
	v_add_nc_u32_e32 v94, 0x6c, v2
	v_lshlrev_b64 v[8:9], 2, v[8:9]
	v_lshlrev_b32_e32 v10, 1, v10
	v_mov_b32_e32 v95, v3
	s_waitcnt lgkmcnt(0)
	v_add_co_u32 v6, s0, s8, v6
	v_lshlrev_b64 v[77:78], 2, v[10:11]
	v_add_co_ci_u32_e64 v7, s0, s9, v7, s0
	s_barrier
	buffer_gl0_inv
	global_load_dwordx2 v[88:89], v[4:5], off offset:1040
	v_add_co_u32 v8, s0, s8, v8
	v_add_co_ci_u32_e64 v9, s0, s9, v9, s0
	v_add_co_u32 v77, s0, s8, v77
	v_lshlrev_b64 v[94:95], 2, v[94:95]
	global_load_dwordx2 v[90:91], v[6:7], off offset:1040
	v_add_co_ci_u32_e64 v78, s0, s9, v78, s0
	v_add_nc_u32_e32 v96, 0x10e, v2
	v_mov_b32_e32 v97, v3
	s_clause 0x1
	global_load_dwordx2 v[92:93], v[8:9], off offset:1040
	global_load_dwordx2 v[98:99], v[77:78], off offset:1040
	v_mov_b32_e32 v82, 0x795d
	v_add_co_u32 v77, s0, s8, v94
	v_add_co_ci_u32_e64 v78, s0, s9, v95, s0
	v_lshlrev_b64 v[94:95], 2, v[96:97]
	v_mul_u32_u24_sdwa v11, v42, v82 dst_sel:DWORD dst_unused:UNUSED_PAD src0_sel:WORD_0 src1_sel:DWORD
	v_mul_u32_u24_sdwa v100, v43, v82 dst_sel:DWORD dst_unused:UNUSED_PAD src0_sel:WORD_0 src1_sel:DWORD
	global_load_dwordx2 v[96:97], v[77:78], off offset:1040
	v_mul_u32_u24_sdwa v102, v44, v82 dst_sel:DWORD dst_unused:UNUSED_PAD src0_sel:WORD_0 src1_sel:DWORD
	v_mul_u32_u24_sdwa v82, v45, v82 dst_sel:DWORD dst_unused:UNUSED_PAD src0_sel:WORD_0 src1_sel:DWORD
	v_add_co_u32 v77, s0, s8, v94
	v_lshrrev_b32_e32 v11, 23, v11
	v_lshrrev_b32_e32 v100, 23, v100
	v_add_co_ci_u32_e64 v78, s0, s9, v95, s0
	v_cmp_lt_u32_e64 s0, 26, v34
	v_mul_lo_u16 v101, 0x10e, v11
	v_mul_lo_u16 v100, 0x10e, v100
	global_load_dwordx2 v[94:95], v[77:78], off offset:1040
	v_lshrrev_b32_e32 v77, 23, v102
	v_add_nc_u32_e32 v2, 0, v2
	v_sub_nc_u16 v108, v42, v101
	v_sub_nc_u16 v78, v43, v100
	v_mul_lo_u16 v77, 0x10e, v77
	v_lshlrev_b32_sdwa v100, v58, v108 dst_sel:DWORD dst_unused:UNUSED_PAD src0_sel:DWORD src1_sel:WORD_0
	v_and_b32_e32 v58, 0xffff, v78
	v_lshrrev_b32_e32 v78, 23, v82
	v_sub_nc_u16 v77, v44, v77
	v_lshlrev_b32_sdwa v59, v59, v108 dst_sel:DWORD dst_unused:UNUSED_PAD src0_sel:DWORD src1_sel:WORD_0
	global_load_dwordx2 v[100:101], v100, s[8:9] offset:1040
	v_lshlrev_b32_e32 v82, 3, v58
	v_mul_lo_u16 v78, 0x10e, v78
	v_and_b32_e32 v77, 0xffff, v77
	global_load_dwordx2 v[102:103], v82, s[8:9] offset:1040
	v_sub_nc_u16 v78, v45, v78
	v_lshlrev_b32_e32 v82, 3, v77
	v_and_b32_e32 v78, 0xffff, v78
	global_load_dwordx2 v[104:105], v82, s[8:9] offset:1040
	v_lshlrev_b32_e32 v82, 3, v78
	global_load_dwordx2 v[106:107], v82, s[8:9] offset:1040
	ds_read_u16 v109, v48 offset:1620
	ds_read_u16 v110, v48 offset:3240
	;; [unrolled: 1-line block ×9, first 2 shown]
	ds_read_u16 v82, v48
	ds_read_u16 v121, v48 offset:3564
	ds_read_u16 v123, v48 offset:3726
	;; [unrolled: 1-line block ×4, first 2 shown]
	s_waitcnt vmcnt(9) lgkmcnt(13)
	v_mul_f16_sdwa v120, v109, v88 dst_sel:DWORD dst_unused:UNUSED_PAD src0_sel:DWORD src1_sel:WORD_1
	v_mul_f16_sdwa v122, v87, v88 dst_sel:DWORD dst_unused:UNUSED_PAD src0_sel:DWORD src1_sel:WORD_1
	v_fmac_f16_e32 v120, v87, v88
	s_waitcnt lgkmcnt(12)
	v_mul_f16_sdwa v87, v110, v89 dst_sel:DWORD dst_unused:UNUSED_PAD src0_sel:DWORD src1_sel:WORD_1
	v_fma_f16 v88, v109, v88, -v122
	v_mul_f16_sdwa v109, v118, v89 dst_sel:DWORD dst_unused:UNUSED_PAD src0_sel:DWORD src1_sel:WORD_1
	s_waitcnt vmcnt(8) lgkmcnt(11)
	v_mul_f16_sdwa v122, v111, v90 dst_sel:DWORD dst_unused:UNUSED_PAD src0_sel:DWORD src1_sel:WORD_1
	v_mul_f16_sdwa v126, v86, v90 dst_sel:DWORD dst_unused:UNUSED_PAD src0_sel:DWORD src1_sel:WORD_1
	s_waitcnt lgkmcnt(10)
	v_mul_f16_sdwa v127, v112, v91 dst_sel:DWORD dst_unused:UNUSED_PAD src0_sel:DWORD src1_sel:WORD_1
	v_fmac_f16_e32 v87, v118, v89
	v_fma_f16 v89, v110, v89, -v109
	v_fmac_f16_e32 v122, v86, v90
	v_fma_f16 v86, v111, v90, -v126
	v_fmac_f16_e32 v127, v116, v91
	v_mul_f16_sdwa v90, v116, v91 dst_sel:DWORD dst_unused:UNUSED_PAD src0_sel:DWORD src1_sel:WORD_1
	s_waitcnt vmcnt(7) lgkmcnt(9)
	v_mul_f16_sdwa v109, v113, v92 dst_sel:DWORD dst_unused:UNUSED_PAD src0_sel:DWORD src1_sel:WORD_1
	v_mul_f16_sdwa v110, v85, v92 dst_sel:DWORD dst_unused:UNUSED_PAD src0_sel:DWORD src1_sel:WORD_1
	s_waitcnt lgkmcnt(3)
	v_mul_f16_sdwa v111, v121, v93 dst_sel:DWORD dst_unused:UNUSED_PAD src0_sel:DWORD src1_sel:WORD_1
	v_mul_f16_sdwa v116, v83, v93 dst_sel:DWORD dst_unused:UNUSED_PAD src0_sel:DWORD src1_sel:WORD_1
	v_fma_f16 v90, v112, v91, -v90
	v_fmac_f16_e32 v109, v85, v92
	v_fma_f16 v91, v113, v92, -v110
	v_fmac_f16_e32 v111, v83, v93
	v_fma_f16 v83, v121, v93, -v116
	s_waitcnt vmcnt(6)
	v_mul_f16_sdwa v92, v114, v98 dst_sel:DWORD dst_unused:UNUSED_PAD src0_sel:DWORD src1_sel:WORD_1
	v_mul_f16_sdwa v85, v84, v98 dst_sel:DWORD dst_unused:UNUSED_PAD src0_sel:DWORD src1_sel:WORD_1
	s_waitcnt lgkmcnt(2)
	v_mul_f16_sdwa v93, v123, v99 dst_sel:DWORD dst_unused:UNUSED_PAD src0_sel:DWORD src1_sel:WORD_1
	v_mul_f16_sdwa v110, v80, v99 dst_sel:DWORD dst_unused:UNUSED_PAD src0_sel:DWORD src1_sel:WORD_1
	ds_read_u16 v112, v48 offset:4050
	v_fmac_f16_e32 v92, v84, v98
	v_fma_f16 v98, v114, v98, -v85
	v_fmac_f16_e32 v93, v80, v99
	v_fma_f16 v80, v123, v99, -v110
	s_waitcnt vmcnt(5)
	v_mul_f16_sdwa v99, v115, v96 dst_sel:DWORD dst_unused:UNUSED_PAD src0_sel:DWORD src1_sel:WORD_1
	v_mul_f16_sdwa v85, v81, v96 dst_sel:DWORD dst_unused:UNUSED_PAD src0_sel:DWORD src1_sel:WORD_1
	s_waitcnt lgkmcnt(2)
	v_mul_f16_sdwa v110, v124, v97 dst_sel:DWORD dst_unused:UNUSED_PAD src0_sel:DWORD src1_sel:WORD_1
	v_mul_f16_sdwa v113, v79, v97 dst_sel:DWORD dst_unused:UNUSED_PAD src0_sel:DWORD src1_sel:WORD_1
	ds_read_u16 v84, v51
	v_fmac_f16_e32 v99, v81, v96
	v_fma_f16 v81, v115, v96, -v85
	ds_read_u16 v96, v48 offset:4212
	v_fmac_f16_e32 v110, v79, v97
	ds_read_u16 v79, v48 offset:2754
	ds_read_u16 v115, v48 offset:4374
	;; [unrolled: 1-line block ×4, first 2 shown]
	ds_read_u16 v85, v50
	ds_read_u16 v121, v49
	v_fma_f16 v97, v124, v97, -v113
	s_waitcnt vmcnt(4)
	v_mul_f16_sdwa v113, v117, v94 dst_sel:DWORD dst_unused:UNUSED_PAD src0_sel:DWORD src1_sel:WORD_1
	v_mul_f16_sdwa v114, v74, v94 dst_sel:DWORD dst_unused:UNUSED_PAD src0_sel:DWORD src1_sel:WORD_1
	ds_read_u16 v124, v48 offset:2916
	s_waitcnt lgkmcnt(9)
	v_mul_f16_sdwa v123, v112, v95 dst_sel:DWORD dst_unused:UNUSED_PAD src0_sel:DWORD src1_sel:WORD_1
	v_add_f16_e32 v108, v66, v122
	v_fmac_f16_e32 v113, v74, v94
	v_mul_f16_sdwa v74, v76, v95 dst_sel:DWORD dst_unused:UNUSED_PAD src0_sel:DWORD src1_sel:WORD_1
	v_fma_f16 v94, v117, v94, -v114
	s_waitcnt vmcnt(3)
	v_mul_f16_sdwa v114, v119, v100 dst_sel:DWORD dst_unused:UNUSED_PAD src0_sel:DWORD src1_sel:WORD_1
	v_fmac_f16_e32 v123, v76, v95
	v_mul_f16_sdwa v76, v73, v100 dst_sel:DWORD dst_unused:UNUSED_PAD src0_sel:DWORD src1_sel:WORD_1
	v_fma_f16 v74, v112, v95, -v74
	s_waitcnt vmcnt(2)
	v_mul_f16_sdwa v112, v72, v102 dst_sel:DWORD dst_unused:UNUSED_PAD src0_sel:DWORD src1_sel:WORD_1
	v_fmac_f16_e32 v114, v73, v100
	v_mul_f16_sdwa v73, v75, v101 dst_sel:DWORD dst_unused:UNUSED_PAD src0_sel:DWORD src1_sel:WORD_1
	v_fma_f16 v76, v119, v100, -v76
	s_waitcnt lgkmcnt(7)
	v_mul_f16_sdwa v95, v96, v101 dst_sel:DWORD dst_unused:UNUSED_PAD src0_sel:DWORD src1_sel:WORD_1
	s_waitcnt lgkmcnt(6)
	v_mul_f16_sdwa v100, v79, v102 dst_sel:DWORD dst_unused:UNUSED_PAD src0_sel:DWORD src1_sel:WORD_1
	v_add_f16_e32 v108, v108, v127
	v_fma_f16 v73, v96, v101, -v73
	v_fmac_f16_e32 v95, v75, v101
	v_fmac_f16_e32 v100, v72, v102
	v_fma_f16 v72, v79, v102, -v112
	s_waitcnt vmcnt(1) lgkmcnt(4)
	v_mul_f16_sdwa v102, v116, v105 dst_sel:DWORD dst_unused:UNUSED_PAD src0_sel:DWORD src1_sel:WORD_1
	v_mul_f16_sdwa v75, v115, v103 dst_sel:DWORD dst_unused:UNUSED_PAD src0_sel:DWORD src1_sel:WORD_1
	;; [unrolled: 1-line block ×4, first 2 shown]
	v_fmac_f16_e32 v102, v68, v105
	v_mul_f16_sdwa v68, v68, v105 dst_sel:DWORD dst_unused:UNUSED_PAD src0_sel:DWORD src1_sel:WORD_1
	v_fmac_f16_e32 v75, v71, v103
	v_fma_f16 v71, v115, v103, -v79
	s_waitcnt vmcnt(0) lgkmcnt(3)
	v_mul_f16_sdwa v103, v118, v107 dst_sel:DWORD dst_unused:UNUSED_PAD src0_sel:DWORD src1_sel:WORD_1
	v_mul_f16_sdwa v79, v125, v106 dst_sel:DWORD dst_unused:UNUSED_PAD src0_sel:DWORD src1_sel:WORD_1
	v_fma_f16 v68, v116, v105, -v68
	ds_read_u16 v116, v52
	s_waitcnt lgkmcnt(1)
	v_mul_f16_sdwa v96, v124, v104 dst_sel:DWORD dst_unused:UNUSED_PAD src0_sel:DWORD src1_sel:WORD_1
	v_fmac_f16_e32 v103, v70, v107
	v_fmac_f16_e32 v79, v69, v106
	v_add_f16_e32 v105, v88, v89
	v_add_f16_e32 v115, v65, v109
	v_fmac_f16_e32 v96, v67, v104
	v_fma_f16 v67, v124, v104, -v101
	v_mul_f16_sdwa v104, v70, v107 dst_sel:DWORD dst_unused:UNUSED_PAD src0_sel:DWORD src1_sel:WORD_1
	v_mul_f16_sdwa v101, v69, v106 dst_sel:DWORD dst_unused:UNUSED_PAD src0_sel:DWORD src1_sel:WORD_1
	v_fma_f16 v70, v118, v107, -v104
	ds_read_u16 v104, v57
	ds_read_u16 v107, v56
	ds_read_u16 v118, v53
	v_fma_f16 v69, v125, v106, -v101
	v_add_f16_e32 v101, v120, v87
	v_add_f16_e32 v106, v62, v120
	v_fmac_f16_e32 v62, -0.5, v101
	v_sub_f16_e32 v101, v88, v89
	v_add_f16_e32 v88, v82, v88
	v_fmac_f16_e32 v82, -0.5, v105
	v_add_f16_e32 v105, v106, v87
	v_sub_f16_e32 v87, v120, v87
	v_fmamk_f16 v106, v101, 0xbaee, v62
	v_fmac_f16_e32 v62, 0x3aee, v101
	v_add_f16_e32 v101, v122, v127
	v_add_f16_e32 v88, v88, v89
	v_fmamk_f16 v89, v87, 0x3aee, v82
	v_fmac_f16_e32 v82, 0xbaee, v87
	v_add_f16_e32 v87, v86, v90
	v_fmac_f16_e32 v66, -0.5, v101
	v_sub_f16_e32 v101, v86, v90
	s_waitcnt lgkmcnt(2)
	v_add_f16_e32 v86, v104, v86
	ds_read_u16 v119, v54
	ds_read_u16 v120, v55
	v_fmac_f16_e32 v104, -0.5, v87
	v_sub_f16_e32 v87, v122, v127
	v_fmamk_f16 v112, v101, 0xbaee, v66
	v_add_f16_e32 v86, v86, v90
	v_add_f16_e32 v90, v109, v111
	v_fmac_f16_e32 v66, 0x3aee, v101
	v_fmamk_f16 v101, v87, 0x3aee, v104
	v_fmac_f16_e32 v104, 0xbaee, v87
	v_add_f16_e32 v87, v91, v83
	v_fmac_f16_e32 v65, -0.5, v90
	v_sub_f16_e32 v90, v91, v83
	s_waitcnt lgkmcnt(3)
	v_add_f16_e32 v91, v107, v91
	v_sub_f16_e32 v109, v109, v111
	v_fmac_f16_e32 v107, -0.5, v87
	v_add_f16_e32 v87, v115, v111
	v_fmamk_f16 v111, v90, 0xbaee, v65
	v_fmac_f16_e32 v65, 0x3aee, v90
	v_add_f16_e32 v90, v91, v83
	v_add_f16_e32 v83, v92, v93
	v_fmamk_f16 v91, v109, 0x3aee, v107
	v_fmac_f16_e32 v107, 0xbaee, v109
	v_add_f16_e32 v109, v98, v80
	v_add_f16_e32 v115, v64, v92
	v_fmac_f16_e32 v64, -0.5, v83
	v_sub_f16_e32 v83, v98, v80
	v_add_f16_e32 v98, v121, v98
	v_fmac_f16_e32 v121, -0.5, v109
	v_sub_f16_e32 v92, v92, v93
	v_add_f16_e32 v109, v115, v93
	v_fmamk_f16 v93, v83, 0xbaee, v64
	v_add_f16_e32 v98, v98, v80
	v_add_f16_e32 v80, v99, v110
	v_fmac_f16_e32 v64, 0x3aee, v83
	v_fmamk_f16 v115, v92, 0x3aee, v121
	v_fmac_f16_e32 v121, 0xbaee, v92
	v_add_f16_e32 v83, v81, v97
	v_add_f16_e32 v92, v63, v99
	v_fmac_f16_e32 v63, -0.5, v80
	v_sub_f16_e32 v80, v81, v97
	v_add_f16_e32 v81, v85, v81
	v_fmac_f16_e32 v85, -0.5, v83
	v_sub_f16_e32 v83, v99, v110
	v_add_f16_e32 v92, v92, v110
	v_fmamk_f16 v99, v80, 0xbaee, v63
	v_fmac_f16_e32 v63, 0x3aee, v80
	v_add_f16_e32 v80, v113, v123
	v_add_f16_e32 v97, v81, v97
	v_fmamk_f16 v110, v83, 0x3aee, v85
	v_fmac_f16_e32 v85, 0xbaee, v83
	v_add_f16_e32 v81, v14, v113
	v_add_f16_e32 v83, v94, v74
	v_fmac_f16_e32 v14, -0.5, v80
	v_sub_f16_e32 v80, v94, v74
	v_add_f16_e32 v94, v84, v94
	v_add_f16_e32 v81, v81, v123
	v_fmac_f16_e32 v84, -0.5, v83
	v_sub_f16_e32 v83, v113, v123
	v_fmamk_f16 v113, v80, 0xbaee, v14
	v_add_f16_e32 v94, v94, v74
	v_add_f16_e32 v74, v114, v95
	v_fmac_f16_e32 v14, 0x3aee, v80
	v_fmamk_f16 v117, v83, 0x3aee, v84
	v_fmac_f16_e32 v84, 0xbaee, v83
	v_add_f16_e32 v80, v61, v114
	v_fmac_f16_e32 v61, -0.5, v74
	v_add_f16_e32 v74, v76, v73
	v_sub_f16_e32 v83, v76, v73
	v_add_f16_e32 v76, v116, v76
	s_waitcnt lgkmcnt(0)
	s_barrier
	v_fmac_f16_e32 v116, -0.5, v74
	v_add_f16_e32 v74, v80, v95
	v_sub_f16_e32 v80, v114, v95
	v_add_f16_e32 v114, v76, v73
	v_add_f16_e32 v73, v100, v75
	;; [unrolled: 1-line block ×3, first 2 shown]
	buffer_gl0_inv
	v_fmamk_f16 v122, v80, 0x3aee, v116
	v_fmac_f16_e32 v116, 0xbaee, v80
	v_add_f16_e32 v80, v12, v100
	v_fmac_f16_e32 v12, -0.5, v73
	v_sub_f16_e32 v73, v72, v71
	v_add_f16_e32 v72, v118, v72
	v_fmac_f16_e32 v118, -0.5, v76
	v_add_f16_e32 v76, v80, v75
	v_sub_f16_e32 v75, v100, v75
	v_fmamk_f16 v80, v73, 0xbaee, v12
	v_add_f16_e32 v100, v72, v71
	v_add_f16_e32 v71, v96, v102
	v_fmac_f16_e32 v12, 0x3aee, v73
	v_add_f16_e32 v72, v67, v68
	v_add_f16_e32 v73, v13, v96
	v_fmamk_f16 v123, v75, 0x3aee, v118
	v_fmac_f16_e32 v13, -0.5, v71
	v_sub_f16_e32 v71, v67, v68
	v_add_f16_e32 v67, v119, v67
	v_fmac_f16_e32 v119, -0.5, v72
	v_add_f16_e32 v72, v73, v102
	v_sub_f16_e32 v73, v96, v102
	v_fmac_f16_e32 v118, 0xbaee, v75
	v_add_f16_e32 v96, v67, v68
	v_add_f16_e32 v67, v79, v103
	v_fmamk_f16 v75, v71, 0xbaee, v13
	v_fmac_f16_e32 v13, 0x3aee, v71
	v_add_f16_e32 v71, v60, v79
	v_fmamk_f16 v102, v73, 0x3aee, v119
	v_fmac_f16_e32 v60, -0.5, v67
	v_sub_f16_e32 v67, v69, v70
	v_fmac_f16_e32 v119, 0xbaee, v73
	ds_write_b16 v48, v105
	ds_write_b16 v48, v106 offset:540
	v_add_f16_e32 v68, v69, v70
	ds_write_b16 v48, v62 offset:1080
	ds_write_b16 v57, v108
	ds_write_b16 v57, v112 offset:540
	ds_write_b16 v57, v66 offset:1080
	v_fmamk_f16 v73, v67, 0xbaee, v60
	v_fmac_f16_e32 v60, 0x3aee, v67
	v_cndmask_b32_e64 v67, 0, 0x654, s0
	ds_write_b16 v56, v87
	ds_write_b16 v56, v111 offset:540
	ds_write_b16 v56, v65 offset:1080
	v_fmamk_f16 v95, v83, 0xbaee, v61
	v_add_f16_e32 v69, v120, v69
	v_fmac_f16_e32 v120, -0.5, v68
	v_add3_u32 v105, 0, v67, v10
	v_mul_u32_u24_e32 v10, 0x654, v11
	v_sub_f16_e32 v68, v79, v103
	ds_write_b16 v105, v109
	ds_write_b16 v105, v93 offset:540
	v_add3_u32 v87, 0, v10, v59
	ds_write_b16 v105, v64 offset:1080
	ds_write_b16 v2, v92 offset:1728
	;; [unrolled: 1-line block ×4, first 2 shown]
	v_lshl_add_u32 v92, v58, 1, 0
	v_fmac_f16_e32 v61, 0x3aee, v83
	v_lshl_add_u32 v93, v77, 1, 0
	v_add_f16_e32 v71, v71, v103
	ds_write_b16 v2, v81 offset:1890
	ds_write_b16 v2, v113 offset:2430
	;; [unrolled: 1-line block ×3, first 2 shown]
	ds_write_b16 v87, v74
	ds_write_b16 v87, v95 offset:540
	ds_write_b16 v87, v61 offset:1080
	v_lshl_add_u32 v95, v78, 1, 0
	v_add_f16_e32 v103, v69, v70
	v_fmamk_f16 v124, v68, 0x3aee, v120
	v_fmac_f16_e32 v120, 0xbaee, v68
	ds_write_b16 v92, v76 offset:3240
	ds_write_b16 v92, v80 offset:3780
	;; [unrolled: 1-line block ×9, first 2 shown]
	s_waitcnt lgkmcnt(0)
	s_barrier
	buffer_gl0_inv
	ds_read_u16 v76, v48 offset:3564
	ds_read_u16 v10, v48 offset:3726
	;; [unrolled: 1-line block ×3, first 2 shown]
	ds_read_u16 v13, v51
	ds_read_u16 v72, v48
	ds_read_u16 v78, v48 offset:1620
	ds_read_u16 v79, v48 offset:1782
	;; [unrolled: 1-line block ×7, first 2 shown]
	ds_read_u16 v60, v52
	ds_read_u16 v63, v53
	;; [unrolled: 1-line block ×3, first 2 shown]
	ds_read_u16 v67, v48 offset:2754
	ds_read_u16 v70, v48 offset:2916
	;; [unrolled: 1-line block ×6, first 2 shown]
	ds_read_u16 v77, v56
	ds_read_u16 v75, v57
	;; [unrolled: 1-line block ×3, first 2 shown]
	ds_read_u16 v83, v48 offset:3402
	ds_read_u16 v81, v48 offset:3240
	;; [unrolled: 1-line block ×3, first 2 shown]
	ds_read_u16 v58, v50
	ds_read_u16 v12, v49
	ds_read_u16 v74, v48 offset:4698
	s_waitcnt lgkmcnt(0)
	s_barrier
	buffer_gl0_inv
	ds_write_b16 v48, v88
	ds_write_b16 v48, v89 offset:540
	ds_write_b16 v48, v82 offset:1080
	ds_write_b16 v57, v86
	ds_write_b16 v57, v101 offset:540
	ds_write_b16 v57, v104 offset:1080
	;; [unrolled: 3-line block ×4, first 2 shown]
	ds_write_b16 v2, v97 offset:1728
	ds_write_b16 v2, v110 offset:2268
	;; [unrolled: 1-line block ×6, first 2 shown]
	ds_write_b16 v87, v114
	ds_write_b16 v87, v122 offset:540
	ds_write_b16 v87, v116 offset:1080
	;; [unrolled: 1-line block ×11, first 2 shown]
	s_waitcnt lgkmcnt(0)
	s_barrier
	buffer_gl0_inv
	s_and_saveexec_b32 s0, vcc_lo
	s_cbranch_execz .LBB0_15
; %bb.14:
	v_lshlrev_b32_e32 v2, 1, v45
	v_add_co_u32 v8, vcc_lo, 0x800, v8
	v_add_co_ci_u32_e32 v9, vcc_lo, 0, v9, vcc_lo
	v_add_co_u32 v6, vcc_lo, 0x800, v6
	v_lshlrev_b64 v[56:57], 2, v[2:3]
	v_add_co_ci_u32_e32 v7, vcc_lo, 0, v7, vcc_lo
	v_add_co_u32 v4, vcc_lo, 0x800, v4
	v_add_co_ci_u32_e32 v5, vcc_lo, 0, v5, vcc_lo
	v_add_co_u32 v2, vcc_lo, s8, v56
	v_add_co_ci_u32_e32 v45, vcc_lo, s9, v57, vcc_lo
	global_load_dwordx2 v[8:9], v[8:9], off offset:1152
	v_add_co_u32 v56, vcc_lo, 0x800, v2
	v_add_co_ci_u32_e32 v57, vcc_lo, 0, v45, vcc_lo
	v_lshlrev_b32_e32 v2, 1, v44
	s_clause 0x2
	global_load_dwordx2 v[6:7], v[6:7], off offset:1152
	global_load_dwordx2 v[4:5], v[4:5], off offset:1152
	;; [unrolled: 1-line block ×3, first 2 shown]
	v_lshlrev_b64 v[56:57], 2, v[2:3]
	v_lshlrev_b32_e32 v2, 1, v43
	v_add_co_u32 v56, vcc_lo, s8, v56
	v_add_co_ci_u32_e32 v57, vcc_lo, s9, v57, vcc_lo
	v_lshlrev_b64 v[84:85], 2, v[2:3]
	v_add_co_u32 v56, vcc_lo, 0x800, v56
	v_lshlrev_b32_e32 v2, 1, v42
	v_add_co_ci_u32_e32 v57, vcc_lo, 0, v57, vcc_lo
	v_add_co_u32 v43, vcc_lo, s8, v84
	v_add_co_ci_u32_e32 v82, vcc_lo, s9, v85, vcc_lo
	v_lshlrev_b64 v[84:85], 2, v[2:3]
	v_add_co_u32 v42, vcc_lo, 0x800, v43
	v_add_co_ci_u32_e32 v43, vcc_lo, 0, v82, vcc_lo
	global_load_dwordx2 v[56:57], v[56:57], off offset:1152
	v_add_co_u32 v2, vcc_lo, s8, v84
	v_add_co_ci_u32_e32 v82, vcc_lo, s9, v85, vcc_lo
	v_add_co_u32 v84, vcc_lo, 0x800, v2
	v_lshlrev_b32_e32 v2, 1, v41
	v_add_co_ci_u32_e32 v85, vcc_lo, 0, v82, vcc_lo
	v_lshlrev_b64 v[86:87], 2, v[2:3]
	s_clause 0x1
	global_load_dwordx2 v[84:85], v[84:85], off offset:1152
	global_load_dwordx2 v[42:43], v[42:43], off offset:1152
	v_add_co_u32 v2, vcc_lo, s8, v86
	v_add_co_ci_u32_e32 v41, vcc_lo, s9, v87, vcc_lo
	v_add_co_u32 v86, vcc_lo, 0x800, v2
	v_add_co_ci_u32_e32 v87, vcc_lo, 0, v41, vcc_lo
	v_lshlrev_b32_e32 v2, 1, v40
	global_load_dwordx2 v[40:41], v[86:87], off offset:1152
	v_lshlrev_b64 v[86:87], 2, v[2:3]
	v_add_co_u32 v2, vcc_lo, s8, v86
	v_add_co_ci_u32_e32 v82, vcc_lo, s9, v87, vcc_lo
	v_add_co_u32 v86, vcc_lo, 0x800, v2
	v_lshlrev_b32_e32 v2, 1, v39
	v_add_co_ci_u32_e32 v87, vcc_lo, 0, v82, vcc_lo
	v_mul_i32_i24_e32 v39, 0xffffffee, v37
	v_mul_i32_i24_e32 v82, 0xffffffee, v38
	v_lshlrev_b64 v[2:3], 2, v[2:3]
	global_load_dwordx2 v[86:87], v[86:87], off offset:1152
	v_mad_u64_u32 v[37:38], null, s2, v35, 0
	v_add_nc_u32_e32 v47, v47, v39
	v_add_co_u32 v2, vcc_lo, s8, v2
	v_add_co_ci_u32_e32 v3, vcc_lo, s9, v3, vcc_lo
	v_add_co_u32 v2, vcc_lo, 0x800, v2
	v_add_co_ci_u32_e32 v3, vcc_lo, 0, v3, vcc_lo
	;; [unrolled: 2-line block ×3, first 2 shown]
	global_load_dwordx2 v[88:89], v[2:3], off offset:1152
	ds_read_u16 v92, v48 offset:3888
	ds_read_u16 v93, v48 offset:3726
	;; [unrolled: 1-line block ×8, first 2 shown]
	ds_read_u16 v100, v55
	ds_read_u16 v101, v54
	;; [unrolled: 1-line block ×7, first 2 shown]
	ds_read_u16 v107, v48 offset:4698
	ds_read_u16 v108, v48 offset:4536
	ds_read_u16 v109, v48 offset:4374
	ds_read_u16 v110, v48 offset:4212
	ds_read_u16 v111, v48 offset:4050
	ds_read_u16 v112, v48
	ds_read_u16 v113, v48 offset:2592
	ds_read_u16 v114, v48 offset:2430
	;; [unrolled: 1-line block ×7, first 2 shown]
	v_mad_u64_u32 v[48:49], null, s2, v36, 0
	v_mad_u64_u32 v[2:3], null, s2, v34, 0
	;; [unrolled: 1-line block ×4, first 2 shown]
	v_mov_b32_e32 v39, v49
	v_mad_u64_u32 v[54:55], null, s2, v31, 0
	s_waitcnt vmcnt(7)
	v_mad_u64_u32 v[90:91], null, s3, v34, v[3:4]
	v_mad_u64_u32 v[34:35], null, s3, v35, v[38:39]
	v_add_nc_u32_e32 v38, v46, v82
	s_waitcnt lgkmcnt(24)
	v_mul_f16_sdwa v82, v95, v7 dst_sel:DWORD dst_unused:UNUSED_PAD src0_sel:DWORD src1_sel:WORD_1
	v_mul_f16_sdwa v120, v78, v4 dst_sel:DWORD dst_unused:UNUSED_PAD src0_sel:DWORD src1_sel:WORD_1
	;; [unrolled: 1-line block ×3, first 2 shown]
	v_mov_b32_e32 v3, v90
	s_waitcnt lgkmcnt(0)
	v_mul_f16_sdwa v122, v119, v4 dst_sel:DWORD dst_unused:UNUSED_PAD src0_sel:DWORD src1_sel:WORD_1
	v_mul_f16_sdwa v123, v96, v5 dst_sel:DWORD dst_unused:UNUSED_PAD src0_sel:DWORD src1_sel:WORD_1
	v_fmac_f16_e32 v82, v83, v7
	v_lshlrev_b64 v[2:3], 2, v[2:3]
	v_fmac_f16_e32 v122, v78, v4
	v_fmac_f16_e32 v123, v81, v5
	s_waitcnt vmcnt(2)
	v_mad_u64_u32 v[35:36], null, s3, v36, v[39:40]
	v_mov_b32_e32 v36, v51
	v_mov_b32_e32 v39, v53
	ds_read_u16 v51, v47
	ds_read_u16 v53, v38
	v_mov_b32_e32 v38, v34
	v_mad_u64_u32 v[46:47], null, s3, v33, v[36:37]
	v_mov_b32_e32 v49, v35
	v_lshlrev_b64 v[33:34], 2, v[37:38]
	v_add_co_u32 v47, vcc_lo, v0, v2
	v_mul_f16_sdwa v2, v80, v8 dst_sel:DWORD dst_unused:UNUSED_PAD src0_sel:DWORD src1_sel:WORD_1
	v_lshlrev_b64 v[37:38], 2, v[48:49]
	v_add_co_ci_u32_e32 v48, vcc_lo, v1, v3, vcc_lo
	v_add_co_u32 v90, vcc_lo, v0, v33
	v_add_co_ci_u32_e32 v91, vcc_lo, v1, v34, vcc_lo
	v_mul_f16_sdwa v3, v76, v9 dst_sel:DWORD dst_unused:UNUSED_PAD src0_sel:DWORD src1_sel:WORD_1
	v_mul_f16_sdwa v33, v117, v8 dst_sel:DWORD dst_unused:UNUSED_PAD src0_sel:DWORD src1_sel:WORD_1
	;; [unrolled: 1-line block ×6, first 2 shown]
	v_fma_f16 v2, v8, v117, -v2
	v_fma_f16 v3, v9, v94, -v3
	v_fmac_f16_e32 v33, v80, v8
	v_fmac_f16_e32 v34, v76, v9
	v_fma_f16 v8, v6, v118, -v35
	v_fma_f16 v9, v7, v95, -v36
	v_fmac_f16_e32 v49, v79, v6
	v_fma_f16 v6, v4, v119, -v120
	v_fma_f16 v7, v5, v96, -v121
	v_add_f16_e32 v4, v2, v3
	v_sub_f16_e32 v5, v33, v34
	s_waitcnt lgkmcnt(1)
	v_add_f16_e32 v35, v51, v2
	v_add_f16_e32 v36, v33, v34
	;; [unrolled: 1-line block ×4, first 2 shown]
	s_waitcnt lgkmcnt(0)
	v_add_f16_e32 v79, v53, v8
	v_add_f16_e32 v80, v49, v82
	;; [unrolled: 1-line block ×6, first 2 shown]
	v_sub_f16_e32 v2, v2, v3
	v_sub_f16_e32 v78, v49, v82
	;; [unrolled: 1-line block ×3, first 2 shown]
	v_add_f16_e32 v49, v75, v49
	v_sub_f16_e32 v83, v122, v123
	v_sub_f16_e32 v6, v6, v7
	v_fma_f16 v117, -0.5, v4, v51
	v_add_f16_e32 v118, v35, v3
	v_fma_f16 v77, -0.5, v36, v77
	v_add_f16_e32 v119, v33, v34
	;; [unrolled: 2-line block ×3, first 2 shown]
	v_fma_f16 v75, -0.5, v80, v75
	v_fma_f16 v3, -0.5, v81, v112
	v_add_f16_e32 v4, v94, v7
	v_fma_f16 v7, -0.5, v95, v72
	v_add_f16_e32 v9, v96, v123
	v_mul_f16_sdwa v33, v73, v44 dst_sel:DWORD dst_unused:UNUSED_PAD src0_sel:DWORD src1_sel:WORD_1
	v_mul_f16_sdwa v34, v74, v45 dst_sel:DWORD dst_unused:UNUSED_PAD src0_sel:DWORD src1_sel:WORD_1
	;; [unrolled: 1-line block ×4, first 2 shown]
	v_add_f16_e32 v49, v49, v82
	v_fmamk_f16 v72, v5, 0xbaee, v117
	v_fmac_f16_e32 v117, 0x3aee, v5
	v_fmamk_f16 v80, v2, 0x3aee, v77
	v_fmac_f16_e32 v77, 0xbaee, v2
	v_fmamk_f16 v81, v78, 0xbaee, v76
	v_fmac_f16_e32 v76, 0x3aee, v78
	v_fmamk_f16 v78, v8, 0x3aee, v75
	v_fmac_f16_e32 v75, 0xbaee, v8
	v_fmamk_f16 v51, v83, 0xbaee, v3
	v_fmac_f16_e32 v3, 0x3aee, v83
	v_fmamk_f16 v53, v6, 0x3aee, v7
	v_fmac_f16_e32 v7, 0xbaee, v6
	v_pack_b32_f16 v82, v9, v4
	v_fma_f16 v2, v44, v97, -v33
	v_fma_f16 v4, v45, v107, -v34
	v_fmac_f16_e32 v35, v73, v44
	v_fmac_f16_e32 v36, v74, v45
	v_mul_f16_sdwa v5, v70, v56 dst_sel:DWORD dst_unused:UNUSED_PAD src0_sel:DWORD src1_sel:WORD_1
	v_mul_f16_sdwa v6, v71, v57 dst_sel:DWORD dst_unused:UNUSED_PAD src0_sel:DWORD src1_sel:WORD_1
	v_mul_f16_sdwa v8, v98, v56 dst_sel:DWORD dst_unused:UNUSED_PAD src0_sel:DWORD src1_sel:WORD_1
	v_mul_f16_sdwa v33, v108, v57 dst_sel:DWORD dst_unused:UNUSED_PAD src0_sel:DWORD src1_sel:WORD_1
	v_pack_b32_f16 v44, v7, v3
	v_add_f16_e32 v3, v2, v4
	v_sub_f16_e32 v7, v35, v36
	v_add_f16_e32 v9, v100, v2
	v_add_f16_e32 v34, v35, v36
	;; [unrolled: 1-line block ×3, first 2 shown]
	v_fma_f16 v73, v56, v98, -v5
	v_fma_f16 v74, v57, v108, -v6
	v_fmac_f16_e32 v8, v70, v56
	v_fmac_f16_e32 v33, v71, v57
	v_mul_f16_sdwa v6, v67, v42 dst_sel:DWORD dst_unused:UNUSED_PAD src0_sel:DWORD src1_sel:WORD_1
	v_mul_f16_sdwa v57, v99, v42 dst_sel:DWORD dst_unused:UNUSED_PAD src0_sel:DWORD src1_sel:WORD_1
	;; [unrolled: 1-line block ×3, first 2 shown]
	v_sub_f16_e32 v45, v2, v4
	v_mul_f16_sdwa v56, v68, v43 dst_sel:DWORD dst_unused:UNUSED_PAD src0_sel:DWORD src1_sel:WORD_1
	v_fma_f16 v2, -0.5, v3, v100
	v_add_f16_e32 v4, v9, v4
	v_fma_f16 v3, -0.5, v34, v69
	v_add_f16_e32 v5, v35, v36
	v_add_f16_e32 v9, v73, v74
	;; [unrolled: 1-line block ×4, first 2 shown]
	v_sub_f16_e32 v69, v73, v74
	v_add_f16_e32 v71, v66, v8
	v_fma_f16 v73, v42, v99, -v6
	v_fmac_f16_e32 v57, v67, v42
	v_fmac_f16_e32 v70, v68, v43
	v_mul_f16_sdwa v42, v64, v84 dst_sel:DWORD dst_unused:UNUSED_PAD src0_sel:DWORD src1_sel:WORD_1
	v_mul_f16_sdwa v67, v113, v84 dst_sel:DWORD dst_unused:UNUSED_PAD src0_sel:DWORD src1_sel:WORD_1
	;; [unrolled: 1-line block ×3, first 2 shown]
	v_sub_f16_e32 v34, v8, v33
	v_fma_f16 v56, v43, v109, -v56
	v_mul_f16_sdwa v43, v65, v85 dst_sel:DWORD dst_unused:UNUSED_PAD src0_sel:DWORD src1_sel:WORD_1
	v_fma_f16 v8, -0.5, v9, v101
	v_fma_f16 v9, -0.5, v36, v66
	v_add_f16_e32 v36, v71, v33
	v_add_f16_e32 v71, v102, v73
	v_fma_f16 v42, v84, v113, -v42
	v_fmac_f16_e32 v67, v64, v84
	v_fmac_f16_e32 v68, v65, v85
	v_mul_f16_sdwa v64, v61, v40 dst_sel:DWORD dst_unused:UNUSED_PAD src0_sel:DWORD src1_sel:WORD_1
	v_mul_f16_sdwa v65, v62, v41 dst_sel:DWORD dst_unused:UNUSED_PAD src0_sel:DWORD src1_sel:WORD_1
	;; [unrolled: 1-line block ×4, first 2 shown]
	v_add_f16_e32 v35, v35, v74
	v_sub_f16_e32 v66, v57, v70
	v_add_f16_e32 v74, v57, v70
	v_add_f16_e32 v57, v63, v57
	v_fmamk_f16 v6, v7, 0xbaee, v2
	v_fmac_f16_e32 v2, 0x3aee, v7
	v_fmamk_f16 v7, v45, 0x3aee, v3
	v_fmac_f16_e32 v3, 0xbaee, v45
	v_add_f16_e32 v45, v73, v56
	v_sub_f16_e32 v73, v73, v56
	v_fma_f16 v43, v85, v110, -v43
	v_add_f16_e32 v56, v71, v56
	v_add_f16_e32 v71, v103, v42
	v_fma_f16 v64, v40, v114, -v64
	v_fma_f16 v65, v41, v111, -v65
	v_fmac_f16_e32 v83, v61, v40
	v_fmac_f16_e32 v84, v62, v41
	s_waitcnt vmcnt(1)
	v_mul_f16_sdwa v40, v59, v86 dst_sel:DWORD dst_unused:UNUSED_PAD src0_sel:DWORD src1_sel:WORD_1
	v_mul_f16_sdwa v41, v14, v87 dst_sel:DWORD dst_unused:UNUSED_PAD src0_sel:DWORD src1_sel:WORD_1
	;; [unrolled: 1-line block ×4, first 2 shown]
	v_fma_f16 v63, -0.5, v74, v63
	v_add_f16_e32 v57, v57, v70
	v_sub_f16_e32 v70, v67, v68
	v_add_f16_e32 v74, v67, v68
	v_add_f16_e32 v67, v60, v67
	v_fmamk_f16 v33, v34, 0xbaee, v8
	v_fmac_f16_e32 v8, 0x3aee, v34
	v_fmamk_f16 v34, v69, 0x3aee, v9
	v_fmac_f16_e32 v9, 0xbaee, v69
	v_fma_f16 v69, -0.5, v45, v102
	v_add_f16_e32 v45, v42, v43
	v_sub_f16_e32 v42, v42, v43
	v_add_f16_e32 v71, v71, v43
	v_add_f16_e32 v43, v64, v65
	v_fma_f16 v40, v86, v115, -v40
	v_fma_f16 v41, v87, v92, -v41
	v_fmac_f16_e32 v61, v59, v86
	v_fmac_f16_e32 v62, v14, v87
	s_waitcnt vmcnt(0)
	v_mul_f16_sdwa v86, v116, v88 dst_sel:DWORD dst_unused:UNUSED_PAD src0_sel:DWORD src1_sel:WORD_1
	v_mul_f16_sdwa v87, v93, v89 dst_sel:DWORD dst_unused:UNUSED_PAD src0_sel:DWORD src1_sel:WORD_1
	;; [unrolled: 1-line block ×4, first 2 shown]
	v_fma_f16 v60, -0.5, v74, v60
	v_add_f16_e32 v67, v67, v68
	v_add_f16_e32 v68, v104, v64
	;; [unrolled: 1-line block ×3, first 2 shown]
	v_fma_f16 v94, -0.5, v43, v104
	v_add_f16_e32 v43, v105, v40
	v_fmac_f16_e32 v86, v11, v88
	v_fmac_f16_e32 v87, v10, v89
	v_fma_f16 v14, v88, v116, -v14
	v_fma_f16 v59, v89, v93, -v59
	v_fmamk_f16 v85, v66, 0xbaee, v69
	v_fmac_f16_e32 v69, 0x3aee, v66
	v_fmamk_f16 v66, v73, 0x3aee, v63
	v_fmac_f16_e32 v63, 0xbaee, v73
	v_fma_f16 v73, -0.5, v45, v103
	v_sub_f16_e32 v45, v83, v84
	v_sub_f16_e32 v64, v64, v65
	v_add_f16_e32 v83, v13, v83
	v_add_f16_e32 v65, v68, v65
	v_fma_f16 v68, -0.5, v74, v13
	v_add_f16_e32 v13, v40, v41
	v_sub_f16_e32 v40, v40, v41
	v_add_f16_e32 v89, v43, v41
	v_add_f16_e32 v41, v86, v87
	v_add_f16_e32 v10, v14, v59
	v_fmamk_f16 v88, v64, 0x3aee, v68
	v_fmac_f16_e32 v68, 0xbaee, v64
	v_fma_f16 v64, -0.5, v13, v105
	v_add_f16_e32 v13, v106, v14
	v_sub_f16_e32 v14, v14, v59
	v_fma_f16 v93, -0.5, v41, v12
	v_sub_f16_e32 v11, v86, v87
	v_add_f16_e32 v43, v12, v86
	v_fma_f16 v86, -0.5, v10, v106
	v_add_f16_e32 v59, v13, v59
	v_mad_u64_u32 v[12:13], null, s3, v32, v[39:40]
	v_add_co_u32 v10, vcc_lo, v0, v37
	v_fmamk_f16 v96, v14, 0x3aee, v93
	v_fmac_f16_e32 v93, 0xbaee, v14
	v_pack_b32_f16 v14, v53, v51
	v_mov_b32_e32 v13, v55
	v_fmamk_f16 v95, v11, 0xbaee, v86
	v_fmac_f16_e32 v86, 0x3aee, v11
	v_add_co_ci_u32_e32 v11, vcc_lo, v1, v38, vcc_lo
	v_mov_b32_e32 v53, v12
	v_mad_u64_u32 v[12:13], null, s3, v31, v[13:14]
	global_store_dword v[47:48], v82, off
	global_store_dword v[90:91], v44, off
	;; [unrolled: 1-line block ×3, first 2 shown]
	v_mad_u64_u32 v[13:14], null, s2, v28, 0
	v_mov_b32_e32 v51, v46
	v_add_f16_e32 v74, v83, v84
	v_add_f16_e32 v83, v61, v62
	v_fmamk_f16 v92, v70, 0xbaee, v73
	v_fmac_f16_e32 v73, 0x3aee, v70
	v_lshlrev_b64 v[10:11], 2, v[50:51]
	v_fmamk_f16 v70, v42, 0x3aee, v60
	v_fmac_f16_e32 v60, 0xbaee, v42
	v_sub_f16_e32 v42, v61, v62
	v_add_f16_e32 v61, v58, v61
	v_fma_f16 v58, -0.5, v83, v58
	v_mov_b32_e32 v55, v12
	v_mov_b32_e32 v12, v14
	v_mad_u64_u32 v[37:38], null, s2, v30, 0
	v_lshlrev_b64 v[31:32], 2, v[52:53]
	v_add_f16_e32 v61, v61, v62
	v_fmamk_f16 v62, v42, 0xbaee, v64
	v_fmac_f16_e32 v64, 0x3aee, v42
	v_fmamk_f16 v83, v40, 0x3aee, v58
	v_fmac_f16_e32 v58, 0xbaee, v40
	v_add_co_u32 v10, vcc_lo, v0, v10
	v_lshlrev_b64 v[39:40], 2, v[54:55]
	v_mad_u64_u32 v[41:42], null, s3, v28, v[12:13]
	v_add_co_ci_u32_e32 v11, vcc_lo, v1, v11, vcc_lo
	v_add_co_u32 v31, vcc_lo, v0, v31
	v_mov_b32_e32 v12, v38
	v_add_co_ci_u32_e32 v32, vcc_lo, v1, v32, vcc_lo
	v_add_f16_e32 v87, v43, v87
	v_mad_u64_u32 v[42:43], null, s2, v29, 0
	v_add_co_u32 v38, vcc_lo, v0, v39
	v_fmamk_f16 v84, v45, 0xbaee, v94
	v_fmac_f16_e32 v94, 0x3aee, v45
	v_pack_b32_f16 v46, v49, v79
	v_add_co_ci_u32_e32 v39, vcc_lo, v1, v40, vcc_lo
	v_mad_u64_u32 v[44:45], null, s3, v30, v[12:13]
	v_pack_b32_f16 v12, v78, v81
	v_mov_b32_e32 v14, v41
	v_pack_b32_f16 v47, v75, v76
	global_store_dword v[10:11], v46, off
	global_store_dword v[31:32], v47, off
	;; [unrolled: 1-line block ×3, first 2 shown]
	v_lshlrev_b64 v[11:12], 2, v[13:14]
	v_mov_b32_e32 v10, v43
	v_mov_b32_e32 v38, v44
	v_pack_b32_f16 v32, v119, v118
	v_pack_b32_f16 v44, v77, v117
	v_pack_b32_f16 v2, v3, v2
	v_mad_u64_u32 v[13:14], null, s3, v29, v[10:11]
	v_mad_u64_u32 v[28:29], null, s2, v25, 0
	v_add_co_u32 v10, vcc_lo, v0, v11
	v_add_co_ci_u32_e32 v11, vcc_lo, v1, v12, vcc_lo
	v_mov_b32_e32 v43, v13
	v_mad_u64_u32 v[13:14], null, s2, v27, 0
	v_mov_b32_e32 v12, v29
	v_lshlrev_b64 v[30:31], 2, v[37:38]
	v_lshlrev_b64 v[37:38], 2, v[42:43]
	v_pack_b32_f16 v3, v7, v6
	v_mad_u64_u32 v[39:40], null, s3, v25, v[12:13]
	v_add_co_u32 v30, vcc_lo, v0, v30
	v_mov_b32_e32 v12, v14
	v_add_co_ci_u32_e32 v31, vcc_lo, v1, v31, vcc_lo
	v_mad_u64_u32 v[40:41], null, s2, v26, 0
	v_add_co_u32 v37, vcc_lo, v0, v37
	v_add_co_ci_u32_e32 v38, vcc_lo, v1, v38, vcc_lo
	v_mad_u64_u32 v[42:43], null, s3, v27, v[12:13]
	v_pack_b32_f16 v12, v80, v72
	v_mov_b32_e32 v29, v39
	global_store_dword v[10:11], v32, off
	global_store_dword v[30:31], v44, off
	v_mov_b32_e32 v10, v41
	v_pack_b32_f16 v32, v87, v59
	global_store_dword v[37:38], v12, off
	v_lshlrev_b64 v[11:12], 2, v[28:29]
	v_mov_b32_e32 v14, v42
	v_mad_u64_u32 v[37:38], null, s2, v23, 0
	v_mad_u64_u32 v[25:26], null, s3, v26, v[10:11]
	;; [unrolled: 1-line block ×3, first 2 shown]
	v_lshlrev_b64 v[13:14], 2, v[13:14]
	v_add_co_u32 v10, vcc_lo, v0, v11
	v_add_co_ci_u32_e32 v11, vcc_lo, v1, v12, vcc_lo
	v_mov_b32_e32 v41, v25
	v_mov_b32_e32 v12, v27
	v_add_co_u32 v13, vcc_lo, v0, v13
	v_add_co_ci_u32_e32 v14, vcc_lo, v1, v14, vcc_lo
	v_lshlrev_b64 v[27:28], 2, v[40:41]
	v_mad_u64_u32 v[29:30], null, s3, v22, v[12:13]
	v_mad_u64_u32 v[30:31], null, s2, v24, 0
	v_pack_b32_f16 v41, v93, v86
	v_add_co_u32 v39, vcc_lo, v0, v27
	v_add_co_ci_u32_e32 v40, vcc_lo, v1, v28, vcc_lo
	v_mul_hi_u32 v28, 0x50e89cc3, v21
	v_mov_b32_e32 v12, v31
	v_mov_b32_e32 v22, v38
	global_store_dword v[10:11], v32, off
	global_store_dword v[13:14], v41, off
	v_mov_b32_e32 v27, v29
	v_pack_b32_f16 v32, v61, v89
	v_mad_u64_u32 v[24:25], null, s3, v24, v[12:13]
	v_lshrrev_b32_e32 v13, 8, v28
	v_mad_u64_u32 v[22:23], null, s3, v23, v[22:23]
	v_pack_b32_f16 v12, v96, v95
	v_lshlrev_b64 v[10:11], 2, v[26:27]
	v_mad_u32_u24 v28, 0x654, v13, v21
	v_mov_b32_e32 v31, v24
	global_store_dword v[39:40], v12, off
	v_mov_b32_e32 v38, v22
	v_add_nc_u32_e32 v29, 0x32a, v28
	v_mad_u64_u32 v[23:24], null, s2, v28, 0
	v_lshlrev_b64 v[12:13], 2, v[30:31]
	v_mul_hi_u32 v31, 0x50e89cc3, v20
	v_mad_u64_u32 v[25:26], null, s2, v29, 0
	v_add_co_u32 v10, vcc_lo, v0, v10
	v_lshlrev_b64 v[21:22], 2, v[37:38]
	v_add_co_ci_u32_e32 v11, vcc_lo, v1, v11, vcc_lo
	v_add_co_u32 v12, vcc_lo, v0, v12
	v_mov_b32_e32 v14, v24
	v_add_co_ci_u32_e32 v13, vcc_lo, v1, v13, vcc_lo
	v_mov_b32_e32 v24, v26
	v_add_co_u32 v21, vcc_lo, v0, v21
	v_add_nc_u32_e32 v37, 0x654, v28
	v_lshrrev_b32_e32 v31, 8, v31
	v_pack_b32_f16 v30, v58, v64
	v_add_co_ci_u32_e32 v22, vcc_lo, v1, v22, vcc_lo
	v_mad_u64_u32 v[26:27], null, s3, v28, v[14:15]
	v_pack_b32_f16 v14, v83, v62
	v_mad_u64_u32 v[27:28], null, s3, v29, v[24:25]
	v_mad_u64_u32 v[28:29], null, s2, v37, 0
	global_store_dword v[10:11], v32, off
	global_store_dword v[12:13], v30, off
	;; [unrolled: 1-line block ×3, first 2 shown]
	v_mad_u32_u24 v30, 0x654, v31, v20
	v_mov_b32_e32 v24, v26
	v_pack_b32_f16 v31, v74, v65
	v_mov_b32_e32 v26, v27
	v_mad_u64_u32 v[13:14], null, s2, v30, 0
	v_mov_b32_e32 v12, v29
	v_lshlrev_b64 v[10:11], 2, v[23:24]
	v_add_nc_u32_e32 v32, 0x32a, v30
	v_mad_u64_u32 v[20:21], null, s3, v37, v[12:13]
	v_mov_b32_e32 v12, v14
	v_lshlrev_b64 v[21:22], 2, v[25:26]
	v_add_co_u32 v10, vcc_lo, v0, v10
	v_add_co_ci_u32_e32 v11, vcc_lo, v1, v11, vcc_lo
	v_mad_u64_u32 v[23:24], null, s3, v30, v[12:13]
	v_mov_b32_e32 v29, v20
	v_mad_u64_u32 v[24:25], null, s2, v32, 0
	v_add_nc_u32_e32 v30, 0x654, v30
	v_add_co_u32 v20, vcc_lo, v0, v21
	v_mov_b32_e32 v14, v23
	v_lshlrev_b64 v[26:27], 2, v[28:29]
	v_add_co_ci_u32_e32 v21, vcc_lo, v1, v22, vcc_lo
	v_mad_u64_u32 v[22:23], null, s2, v30, 0
	v_lshlrev_b64 v[13:14], 2, v[13:14]
	v_mov_b32_e32 v12, v25
	v_add_co_u32 v26, vcc_lo, v0, v26
	v_add_co_ci_u32_e32 v27, vcc_lo, v1, v27, vcc_lo
	v_pack_b32_f16 v37, v68, v94
	v_mad_u64_u32 v[28:29], null, s3, v32, v[12:13]
	v_add_co_u32 v13, vcc_lo, v0, v13
	v_pack_b32_f16 v32, v88, v84
	v_mov_b32_e32 v12, v23
	v_add_co_ci_u32_e32 v14, vcc_lo, v1, v14, vcc_lo
	v_pack_b32_f16 v23, v67, v71
	global_store_dword v[10:11], v31, off
	global_store_dword v[20:21], v37, off
	;; [unrolled: 1-line block ×4, first 2 shown]
	v_mad_u64_u32 v[20:21], null, s2, v19, 0
	v_mov_b32_e32 v25, v28
	v_mad_u64_u32 v[28:29], null, s3, v30, v[12:13]
	v_mad_u64_u32 v[12:13], null, s2, v17, 0
	v_lshlrev_b64 v[10:11], 2, v[24:25]
	v_mov_b32_e32 v14, v21
	v_pack_b32_f16 v29, v60, v73
	v_mov_b32_e32 v23, v28
	v_mad_u64_u32 v[24:25], null, s3, v17, v[13:14]
	v_mad_u64_u32 v[25:26], null, s2, v18, 0
	v_mul_hi_u32 v17, 0x50e89cc3, v16
	v_lshlrev_b64 v[22:23], 2, v[22:23]
	v_mad_u64_u32 v[27:28], null, s3, v19, v[14:15]
	v_add_co_u32 v10, vcc_lo, v0, v10
	v_mov_b32_e32 v14, v26
	v_mov_b32_e32 v13, v24
	v_lshrrev_b32_e32 v24, 8, v17
	v_add_co_ci_u32_e32 v11, vcc_lo, v1, v11, vcc_lo
	v_add_co_u32 v22, vcc_lo, v0, v22
	v_mad_u64_u32 v[17:18], null, s3, v18, v[14:15]
	v_add_co_ci_u32_e32 v23, vcc_lo, v1, v23, vcc_lo
	v_pack_b32_f16 v19, v70, v92
	v_mad_u32_u24 v24, 0x654, v24, v16
	v_mov_b32_e32 v21, v27
	global_store_dword v[10:11], v29, off
	v_lshlrev_b64 v[10:11], 2, v[12:13]
	global_store_dword v[22:23], v19, off
	v_mad_u64_u32 v[18:19], null, s2, v24, 0
	v_mov_b32_e32 v26, v17
	v_lshlrev_b64 v[12:13], 2, v[20:21]
	v_add_co_u32 v10, vcc_lo, v0, v10
	v_add_co_ci_u32_e32 v11, vcc_lo, v1, v11, vcc_lo
	v_lshlrev_b64 v[16:17], 2, v[25:26]
	v_mov_b32_e32 v14, v19
	v_add_co_u32 v12, vcc_lo, v0, v12
	v_mul_hi_u32 v22, 0x50e89cc3, v15
	v_add_co_ci_u32_e32 v13, vcc_lo, v1, v13, vcc_lo
	v_pack_b32_f16 v21, v57, v56
	v_add_co_u32 v16, vcc_lo, v0, v16
	v_mad_u64_u32 v[19:20], null, s3, v24, v[14:15]
	v_pack_b32_f16 v14, v63, v69
	v_add_co_ci_u32_e32 v17, vcc_lo, v1, v17, vcc_lo
	v_pack_b32_f16 v20, v66, v85
	global_store_dword v[10:11], v21, off
	global_store_dword v[12:13], v14, off
	;; [unrolled: 1-line block ×3, first 2 shown]
	v_lshrrev_b32_e32 v14, 8, v22
	v_add_nc_u32_e32 v20, 0x32a, v24
	v_add_nc_u32_e32 v21, 0x654, v24
	v_lshlrev_b64 v[10:11], 2, v[18:19]
	v_pack_b32_f16 v25, v36, v35
	v_mad_u32_u24 v24, 0x654, v14, v15
	v_mad_u64_u32 v[12:13], null, s2, v20, 0
	v_mad_u64_u32 v[16:17], null, s2, v21, 0
	v_mad_u64_u32 v[14:15], null, s2, v24, 0
	v_add_nc_u32_e32 v26, 0x32a, v24
	v_add_co_u32 v10, vcc_lo, v0, v10
	v_add_co_ci_u32_e32 v11, vcc_lo, v1, v11, vcc_lo
	v_mad_u64_u32 v[18:19], null, s3, v20, v[13:14]
	v_mad_u64_u32 v[22:23], null, s3, v24, v[15:16]
	v_add_nc_u32_e32 v23, 0x654, v24
	global_store_dword v[10:11], v25, off
	v_mad_u64_u32 v[19:20], null, s3, v21, v[17:18]
	v_mad_u64_u32 v[20:21], null, s2, v26, 0
	v_mov_b32_e32 v13, v18
	v_mov_b32_e32 v15, v22
	v_pack_b32_f16 v22, v9, v8
	v_mov_b32_e32 v17, v19
	v_mad_u64_u32 v[18:19], null, s2, v23, 0
	v_lshlrev_b64 v[10:11], 2, v[12:13]
	v_mov_b32_e32 v12, v21
	v_lshlrev_b64 v[14:15], 2, v[14:15]
	v_lshlrev_b64 v[8:9], 2, v[16:17]
	v_mad_u64_u32 v[12:13], null, s3, v26, v[12:13]
	v_mov_b32_e32 v13, v19
	v_add_co_u32 v10, vcc_lo, v0, v10
	v_add_co_ci_u32_e32 v11, vcc_lo, v1, v11, vcc_lo
	v_mad_u64_u32 v[16:17], null, s3, v23, v[13:14]
	v_mov_b32_e32 v21, v12
	v_add_co_u32 v8, vcc_lo, v0, v8
	v_add_co_ci_u32_e32 v9, vcc_lo, v1, v9, vcc_lo
	v_lshlrev_b64 v[12:13], 2, v[20:21]
	v_mov_b32_e32 v19, v16
	v_add_co_u32 v14, vcc_lo, v0, v14
	v_pack_b32_f16 v16, v5, v4
	v_add_co_ci_u32_e32 v15, vcc_lo, v1, v15, vcc_lo
	v_lshlrev_b64 v[4:5], 2, v[18:19]
	v_add_co_u32 v12, vcc_lo, v0, v12
	v_pack_b32_f16 v17, v34, v33
	v_add_co_ci_u32_e32 v13, vcc_lo, v1, v13, vcc_lo
	v_add_co_u32 v0, vcc_lo, v0, v4
	v_add_co_ci_u32_e32 v1, vcc_lo, v1, v5, vcc_lo
	global_store_dword v[10:11], v22, off
	global_store_dword v[8:9], v17, off
	;; [unrolled: 1-line block ×5, first 2 shown]
.LBB0_15:
	s_endpgm
	.section	.rodata,"a",@progbits
	.p2align	6, 0x0
	.amdhsa_kernel fft_rtc_back_len2430_factors_10_3_3_3_3_3_wgs_81_tpt_81_halfLds_half_ip_CI_sbrr_dirReg
		.amdhsa_group_segment_fixed_size 0
		.amdhsa_private_segment_fixed_size 0
		.amdhsa_kernarg_size 88
		.amdhsa_user_sgpr_count 6
		.amdhsa_user_sgpr_private_segment_buffer 1
		.amdhsa_user_sgpr_dispatch_ptr 0
		.amdhsa_user_sgpr_queue_ptr 0
		.amdhsa_user_sgpr_kernarg_segment_ptr 1
		.amdhsa_user_sgpr_dispatch_id 0
		.amdhsa_user_sgpr_flat_scratch_init 0
		.amdhsa_user_sgpr_private_segment_size 0
		.amdhsa_wavefront_size32 1
		.amdhsa_uses_dynamic_stack 0
		.amdhsa_system_sgpr_private_segment_wavefront_offset 0
		.amdhsa_system_sgpr_workgroup_id_x 1
		.amdhsa_system_sgpr_workgroup_id_y 0
		.amdhsa_system_sgpr_workgroup_id_z 0
		.amdhsa_system_sgpr_workgroup_info 0
		.amdhsa_system_vgpr_workitem_id 0
		.amdhsa_next_free_vgpr 149
		.amdhsa_next_free_sgpr 23
		.amdhsa_reserve_vcc 1
		.amdhsa_reserve_flat_scratch 0
		.amdhsa_float_round_mode_32 0
		.amdhsa_float_round_mode_16_64 0
		.amdhsa_float_denorm_mode_32 3
		.amdhsa_float_denorm_mode_16_64 3
		.amdhsa_dx10_clamp 1
		.amdhsa_ieee_mode 1
		.amdhsa_fp16_overflow 0
		.amdhsa_workgroup_processor_mode 1
		.amdhsa_memory_ordered 1
		.amdhsa_forward_progress 0
		.amdhsa_shared_vgpr_count 0
		.amdhsa_exception_fp_ieee_invalid_op 0
		.amdhsa_exception_fp_denorm_src 0
		.amdhsa_exception_fp_ieee_div_zero 0
		.amdhsa_exception_fp_ieee_overflow 0
		.amdhsa_exception_fp_ieee_underflow 0
		.amdhsa_exception_fp_ieee_inexact 0
		.amdhsa_exception_int_div_zero 0
	.end_amdhsa_kernel
	.text
.Lfunc_end0:
	.size	fft_rtc_back_len2430_factors_10_3_3_3_3_3_wgs_81_tpt_81_halfLds_half_ip_CI_sbrr_dirReg, .Lfunc_end0-fft_rtc_back_len2430_factors_10_3_3_3_3_3_wgs_81_tpt_81_halfLds_half_ip_CI_sbrr_dirReg
                                        ; -- End function
	.section	.AMDGPU.csdata,"",@progbits
; Kernel info:
; codeLenInByte = 23084
; NumSgprs: 25
; NumVgprs: 149
; ScratchSize: 0
; MemoryBound: 0
; FloatMode: 240
; IeeeMode: 1
; LDSByteSize: 0 bytes/workgroup (compile time only)
; SGPRBlocks: 3
; VGPRBlocks: 18
; NumSGPRsForWavesPerEU: 25
; NumVGPRsForWavesPerEU: 149
; Occupancy: 6
; WaveLimiterHint : 1
; COMPUTE_PGM_RSRC2:SCRATCH_EN: 0
; COMPUTE_PGM_RSRC2:USER_SGPR: 6
; COMPUTE_PGM_RSRC2:TRAP_HANDLER: 0
; COMPUTE_PGM_RSRC2:TGID_X_EN: 1
; COMPUTE_PGM_RSRC2:TGID_Y_EN: 0
; COMPUTE_PGM_RSRC2:TGID_Z_EN: 0
; COMPUTE_PGM_RSRC2:TIDIG_COMP_CNT: 0
	.text
	.p2alignl 6, 3214868480
	.fill 48, 4, 3214868480
	.type	__hip_cuid_b6ea2c3a47eb2582,@object ; @__hip_cuid_b6ea2c3a47eb2582
	.section	.bss,"aw",@nobits
	.globl	__hip_cuid_b6ea2c3a47eb2582
__hip_cuid_b6ea2c3a47eb2582:
	.byte	0                               ; 0x0
	.size	__hip_cuid_b6ea2c3a47eb2582, 1

	.ident	"AMD clang version 19.0.0git (https://github.com/RadeonOpenCompute/llvm-project roc-6.4.0 25133 c7fe45cf4b819c5991fe208aaa96edf142730f1d)"
	.section	".note.GNU-stack","",@progbits
	.addrsig
	.addrsig_sym __hip_cuid_b6ea2c3a47eb2582
	.amdgpu_metadata
---
amdhsa.kernels:
  - .args:
      - .actual_access:  read_only
        .address_space:  global
        .offset:         0
        .size:           8
        .value_kind:     global_buffer
      - .offset:         8
        .size:           8
        .value_kind:     by_value
      - .actual_access:  read_only
        .address_space:  global
        .offset:         16
        .size:           8
        .value_kind:     global_buffer
      - .actual_access:  read_only
        .address_space:  global
        .offset:         24
        .size:           8
        .value_kind:     global_buffer
      - .offset:         32
        .size:           8
        .value_kind:     by_value
      - .actual_access:  read_only
        .address_space:  global
        .offset:         40
        .size:           8
        .value_kind:     global_buffer
      - .actual_access:  read_only
        .address_space:  global
        .offset:         48
        .size:           8
        .value_kind:     global_buffer
      - .offset:         56
        .size:           4
        .value_kind:     by_value
      - .actual_access:  read_only
        .address_space:  global
        .offset:         64
        .size:           8
        .value_kind:     global_buffer
      - .actual_access:  read_only
        .address_space:  global
        .offset:         72
        .size:           8
        .value_kind:     global_buffer
      - .address_space:  global
        .offset:         80
        .size:           8
        .value_kind:     global_buffer
    .group_segment_fixed_size: 0
    .kernarg_segment_align: 8
    .kernarg_segment_size: 88
    .language:       OpenCL C
    .language_version:
      - 2
      - 0
    .max_flat_workgroup_size: 81
    .name:           fft_rtc_back_len2430_factors_10_3_3_3_3_3_wgs_81_tpt_81_halfLds_half_ip_CI_sbrr_dirReg
    .private_segment_fixed_size: 0
    .sgpr_count:     25
    .sgpr_spill_count: 0
    .symbol:         fft_rtc_back_len2430_factors_10_3_3_3_3_3_wgs_81_tpt_81_halfLds_half_ip_CI_sbrr_dirReg.kd
    .uniform_work_group_size: 1
    .uses_dynamic_stack: false
    .vgpr_count:     149
    .vgpr_spill_count: 0
    .wavefront_size: 32
    .workgroup_processor_mode: 1
amdhsa.target:   amdgcn-amd-amdhsa--gfx1030
amdhsa.version:
  - 1
  - 2
...

	.end_amdgpu_metadata
